;; amdgpu-corpus repo=ROCm/rocFFT kind=compiled arch=gfx906 opt=O3
	.text
	.amdgcn_target "amdgcn-amd-amdhsa--gfx906"
	.amdhsa_code_object_version 6
	.protected	fft_rtc_back_len1632_factors_17_2_2_3_8_wgs_102_tpt_102_halfLds_sp_ip_CI_sbrr_dirReg ; -- Begin function fft_rtc_back_len1632_factors_17_2_2_3_8_wgs_102_tpt_102_halfLds_sp_ip_CI_sbrr_dirReg
	.globl	fft_rtc_back_len1632_factors_17_2_2_3_8_wgs_102_tpt_102_halfLds_sp_ip_CI_sbrr_dirReg
	.p2align	8
	.type	fft_rtc_back_len1632_factors_17_2_2_3_8_wgs_102_tpt_102_halfLds_sp_ip_CI_sbrr_dirReg,@function
fft_rtc_back_len1632_factors_17_2_2_3_8_wgs_102_tpt_102_halfLds_sp_ip_CI_sbrr_dirReg: ; @fft_rtc_back_len1632_factors_17_2_2_3_8_wgs_102_tpt_102_halfLds_sp_ip_CI_sbrr_dirReg
; %bb.0:
	s_load_dwordx2 s[2:3], s[4:5], 0x18
	s_load_dwordx4 s[8:11], s[4:5], 0x0
	s_load_dwordx2 s[14:15], s[4:5], 0x50
	v_mul_u32_u24_e32 v1, 0x283, v0
	v_add_u32_sdwa v5, s6, v1 dst_sel:DWORD dst_unused:UNUSED_PAD src0_sel:DWORD src1_sel:WORD_1
	s_waitcnt lgkmcnt(0)
	s_load_dwordx2 s[12:13], s[2:3], 0x0
	v_cmp_lt_u64_e64 s[0:1], s[10:11], 2
	v_mov_b32_e32 v3, 0
	v_mov_b32_e32 v1, 0
	;; [unrolled: 1-line block ×3, first 2 shown]
	s_and_b64 vcc, exec, s[0:1]
	v_mov_b32_e32 v2, 0
	s_cbranch_vccnz .LBB0_8
; %bb.1:
	s_load_dwordx2 s[0:1], s[4:5], 0x10
	s_add_u32 s6, s2, 8
	s_addc_u32 s7, s3, 0
	v_mov_b32_e32 v1, 0
	v_mov_b32_e32 v2, 0
	s_waitcnt lgkmcnt(0)
	s_add_u32 s16, s0, 8
	s_addc_u32 s17, s1, 0
	s_mov_b64 s[18:19], 1
.LBB0_2:                                ; =>This Inner Loop Header: Depth=1
	s_load_dwordx2 s[20:21], s[16:17], 0x0
                                        ; implicit-def: $vgpr7_vgpr8
	s_waitcnt lgkmcnt(0)
	v_or_b32_e32 v4, s21, v6
	v_cmp_ne_u64_e32 vcc, 0, v[3:4]
	s_and_saveexec_b64 s[0:1], vcc
	s_xor_b64 s[22:23], exec, s[0:1]
	s_cbranch_execz .LBB0_4
; %bb.3:                                ;   in Loop: Header=BB0_2 Depth=1
	v_cvt_f32_u32_e32 v4, s20
	v_cvt_f32_u32_e32 v7, s21
	s_sub_u32 s0, 0, s20
	s_subb_u32 s1, 0, s21
	v_mac_f32_e32 v4, 0x4f800000, v7
	v_rcp_f32_e32 v4, v4
	v_mul_f32_e32 v4, 0x5f7ffffc, v4
	v_mul_f32_e32 v7, 0x2f800000, v4
	v_trunc_f32_e32 v7, v7
	v_mac_f32_e32 v4, 0xcf800000, v7
	v_cvt_u32_f32_e32 v7, v7
	v_cvt_u32_f32_e32 v4, v4
	v_mul_lo_u32 v8, s0, v7
	v_mul_hi_u32 v9, s0, v4
	v_mul_lo_u32 v11, s1, v4
	v_mul_lo_u32 v10, s0, v4
	v_add_u32_e32 v8, v9, v8
	v_add_u32_e32 v8, v8, v11
	v_mul_hi_u32 v9, v4, v10
	v_mul_lo_u32 v11, v4, v8
	v_mul_hi_u32 v13, v4, v8
	v_mul_hi_u32 v12, v7, v10
	v_mul_lo_u32 v10, v7, v10
	v_mul_hi_u32 v14, v7, v8
	v_add_co_u32_e32 v9, vcc, v9, v11
	v_addc_co_u32_e32 v11, vcc, 0, v13, vcc
	v_mul_lo_u32 v8, v7, v8
	v_add_co_u32_e32 v9, vcc, v9, v10
	v_addc_co_u32_e32 v9, vcc, v11, v12, vcc
	v_addc_co_u32_e32 v10, vcc, 0, v14, vcc
	v_add_co_u32_e32 v8, vcc, v9, v8
	v_addc_co_u32_e32 v9, vcc, 0, v10, vcc
	v_add_co_u32_e32 v4, vcc, v4, v8
	v_addc_co_u32_e32 v7, vcc, v7, v9, vcc
	v_mul_lo_u32 v8, s0, v7
	v_mul_hi_u32 v9, s0, v4
	v_mul_lo_u32 v10, s1, v4
	v_mul_lo_u32 v11, s0, v4
	v_add_u32_e32 v8, v9, v8
	v_add_u32_e32 v8, v8, v10
	v_mul_lo_u32 v12, v4, v8
	v_mul_hi_u32 v13, v4, v11
	v_mul_hi_u32 v14, v4, v8
	;; [unrolled: 1-line block ×3, first 2 shown]
	v_mul_lo_u32 v11, v7, v11
	v_mul_hi_u32 v9, v7, v8
	v_add_co_u32_e32 v12, vcc, v13, v12
	v_addc_co_u32_e32 v13, vcc, 0, v14, vcc
	v_mul_lo_u32 v8, v7, v8
	v_add_co_u32_e32 v11, vcc, v12, v11
	v_addc_co_u32_e32 v10, vcc, v13, v10, vcc
	v_addc_co_u32_e32 v9, vcc, 0, v9, vcc
	v_add_co_u32_e32 v8, vcc, v10, v8
	v_addc_co_u32_e32 v9, vcc, 0, v9, vcc
	v_add_co_u32_e32 v4, vcc, v4, v8
	v_addc_co_u32_e32 v9, vcc, v7, v9, vcc
	v_mad_u64_u32 v[7:8], s[0:1], v5, v9, 0
	v_mul_hi_u32 v10, v5, v4
	v_add_co_u32_e32 v11, vcc, v10, v7
	v_addc_co_u32_e32 v12, vcc, 0, v8, vcc
	v_mad_u64_u32 v[7:8], s[0:1], v6, v4, 0
	v_mad_u64_u32 v[9:10], s[0:1], v6, v9, 0
	v_add_co_u32_e32 v4, vcc, v11, v7
	v_addc_co_u32_e32 v4, vcc, v12, v8, vcc
	v_addc_co_u32_e32 v7, vcc, 0, v10, vcc
	v_add_co_u32_e32 v4, vcc, v4, v9
	v_addc_co_u32_e32 v9, vcc, 0, v7, vcc
	v_mul_lo_u32 v10, s21, v4
	v_mul_lo_u32 v11, s20, v9
	v_mad_u64_u32 v[7:8], s[0:1], s20, v4, 0
	v_add3_u32 v8, v8, v11, v10
	v_sub_u32_e32 v10, v6, v8
	v_mov_b32_e32 v11, s21
	v_sub_co_u32_e32 v7, vcc, v5, v7
	v_subb_co_u32_e64 v10, s[0:1], v10, v11, vcc
	v_subrev_co_u32_e64 v11, s[0:1], s20, v7
	v_subbrev_co_u32_e64 v10, s[0:1], 0, v10, s[0:1]
	v_cmp_le_u32_e64 s[0:1], s21, v10
	v_cndmask_b32_e64 v12, 0, -1, s[0:1]
	v_cmp_le_u32_e64 s[0:1], s20, v11
	v_cndmask_b32_e64 v11, 0, -1, s[0:1]
	v_cmp_eq_u32_e64 s[0:1], s21, v10
	v_cndmask_b32_e64 v10, v12, v11, s[0:1]
	v_add_co_u32_e64 v11, s[0:1], 2, v4
	v_addc_co_u32_e64 v12, s[0:1], 0, v9, s[0:1]
	v_add_co_u32_e64 v13, s[0:1], 1, v4
	v_addc_co_u32_e64 v14, s[0:1], 0, v9, s[0:1]
	v_subb_co_u32_e32 v8, vcc, v6, v8, vcc
	v_cmp_ne_u32_e64 s[0:1], 0, v10
	v_cmp_le_u32_e32 vcc, s21, v8
	v_cndmask_b32_e64 v10, v14, v12, s[0:1]
	v_cndmask_b32_e64 v12, 0, -1, vcc
	v_cmp_le_u32_e32 vcc, s20, v7
	v_cndmask_b32_e64 v7, 0, -1, vcc
	v_cmp_eq_u32_e32 vcc, s21, v8
	v_cndmask_b32_e32 v7, v12, v7, vcc
	v_cmp_ne_u32_e32 vcc, 0, v7
	v_cndmask_b32_e64 v7, v13, v11, s[0:1]
	v_cndmask_b32_e32 v8, v9, v10, vcc
	v_cndmask_b32_e32 v7, v4, v7, vcc
.LBB0_4:                                ;   in Loop: Header=BB0_2 Depth=1
	s_andn2_saveexec_b64 s[0:1], s[22:23]
	s_cbranch_execz .LBB0_6
; %bb.5:                                ;   in Loop: Header=BB0_2 Depth=1
	v_cvt_f32_u32_e32 v4, s20
	s_sub_i32 s22, 0, s20
	v_rcp_iflag_f32_e32 v4, v4
	v_mul_f32_e32 v4, 0x4f7ffffe, v4
	v_cvt_u32_f32_e32 v4, v4
	v_mul_lo_u32 v7, s22, v4
	v_mul_hi_u32 v7, v4, v7
	v_add_u32_e32 v4, v4, v7
	v_mul_hi_u32 v4, v5, v4
	v_mul_lo_u32 v7, v4, s20
	v_add_u32_e32 v8, 1, v4
	v_sub_u32_e32 v7, v5, v7
	v_subrev_u32_e32 v9, s20, v7
	v_cmp_le_u32_e32 vcc, s20, v7
	v_cndmask_b32_e32 v7, v7, v9, vcc
	v_cndmask_b32_e32 v4, v4, v8, vcc
	v_add_u32_e32 v8, 1, v4
	v_cmp_le_u32_e32 vcc, s20, v7
	v_cndmask_b32_e32 v7, v4, v8, vcc
	v_mov_b32_e32 v8, v3
.LBB0_6:                                ;   in Loop: Header=BB0_2 Depth=1
	s_or_b64 exec, exec, s[0:1]
	v_mul_lo_u32 v4, v8, s20
	v_mul_lo_u32 v11, v7, s21
	v_mad_u64_u32 v[9:10], s[0:1], v7, s20, 0
	s_load_dwordx2 s[0:1], s[6:7], 0x0
	s_add_u32 s18, s18, 1
	v_add3_u32 v4, v10, v11, v4
	v_sub_co_u32_e32 v5, vcc, v5, v9
	v_subb_co_u32_e32 v4, vcc, v6, v4, vcc
	s_waitcnt lgkmcnt(0)
	v_mul_lo_u32 v4, s0, v4
	v_mul_lo_u32 v6, s1, v5
	v_mad_u64_u32 v[1:2], s[0:1], s0, v5, v[1:2]
	s_addc_u32 s19, s19, 0
	s_add_u32 s6, s6, 8
	v_add3_u32 v2, v6, v2, v4
	v_mov_b32_e32 v4, s10
	v_mov_b32_e32 v5, s11
	s_addc_u32 s7, s7, 0
	v_cmp_ge_u64_e32 vcc, s[18:19], v[4:5]
	s_add_u32 s16, s16, 8
	s_addc_u32 s17, s17, 0
	s_cbranch_vccnz .LBB0_9
; %bb.7:                                ;   in Loop: Header=BB0_2 Depth=1
	v_mov_b32_e32 v5, v7
	v_mov_b32_e32 v6, v8
	s_branch .LBB0_2
.LBB0_8:
	v_mov_b32_e32 v8, v6
	v_mov_b32_e32 v7, v5
.LBB0_9:
	s_lshl_b64 s[0:1], s[10:11], 3
	s_add_u32 s0, s2, s0
	s_addc_u32 s1, s3, s1
	s_load_dwordx2 s[2:3], s[0:1], 0x0
	s_load_dwordx2 s[6:7], s[4:5], 0x20
                                        ; implicit-def: $vgpr9
                                        ; implicit-def: $vgpr11
                                        ; implicit-def: $vgpr13
                                        ; implicit-def: $vgpr15
                                        ; implicit-def: $vgpr17
                                        ; implicit-def: $vgpr19
                                        ; implicit-def: $vgpr21
                                        ; implicit-def: $vgpr23
                                        ; implicit-def: $vgpr25
                                        ; implicit-def: $vgpr27
                                        ; implicit-def: $vgpr29
                                        ; implicit-def: $vgpr31
                                        ; implicit-def: $vgpr35
                                        ; implicit-def: $vgpr33
	s_waitcnt lgkmcnt(0)
	v_mad_u64_u32 v[1:2], s[0:1], s2, v7, v[1:2]
	s_mov_b32 s0, 0x2828283
	v_mul_lo_u32 v3, s2, v8
	v_mul_lo_u32 v4, s3, v7
	v_mul_hi_u32 v5, v0, s0
	v_cmp_gt_u64_e32 vcc, s[6:7], v[7:8]
	s_movk_i32 s0, 0x60
	v_add3_u32 v2, v4, v2, v3
	v_mul_u32_u24_e32 v3, 0x66, v5
	v_sub_u32_e32 v56, v0, v3
	v_cmp_gt_u32_e64 s[0:1], s0, v56
	v_lshlrev_b64 v[0:1], 3, v[1:2]
	s_and_b64 s[2:3], vcc, s[0:1]
	v_mov_b32_e32 v3, 0
	v_mov_b32_e32 v2, 0
                                        ; implicit-def: $vgpr5
                                        ; implicit-def: $vgpr7
	s_and_saveexec_b64 s[4:5], s[2:3]
	s_cbranch_execz .LBB0_11
; %bb.10:
	v_mad_u64_u32 v[2:3], s[2:3], s12, v56, 0
	v_add_u32_e32 v7, 0x60, v56
	v_mov_b32_e32 v6, s15
	v_mad_u64_u32 v[3:4], s[2:3], s13, v56, v[3:4]
	v_mad_u64_u32 v[4:5], s[2:3], s12, v7, 0
	v_add_co_u32_e64 v10, s[2:3], s14, v0
	v_addc_co_u32_e64 v11, s[2:3], v6, v1, s[2:3]
	v_mad_u64_u32 v[5:6], s[2:3], s13, v7, v[5:6]
	v_add_u32_e32 v8, 0xc0, v56
	v_mad_u64_u32 v[6:7], s[2:3], s12, v8, 0
	v_lshlrev_b64 v[2:3], 3, v[2:3]
	v_add_co_u32_e64 v32, s[2:3], v10, v2
	v_addc_co_u32_e64 v33, s[2:3], v11, v3, s[2:3]
	v_lshlrev_b64 v[2:3], 3, v[4:5]
	v_mov_b32_e32 v4, v7
	v_mad_u64_u32 v[4:5], s[2:3], s13, v8, v[4:5]
	v_add_u32_e32 v5, 0x120, v56
	v_mad_u64_u32 v[8:9], s[2:3], s12, v5, 0
	v_add_co_u32_e64 v34, s[2:3], v10, v2
	v_mov_b32_e32 v7, v4
	v_mov_b32_e32 v4, v9
	v_addc_co_u32_e64 v35, s[2:3], v11, v3, s[2:3]
	v_lshlrev_b64 v[2:3], 3, v[6:7]
	v_mad_u64_u32 v[4:5], s[2:3], s13, v5, v[4:5]
	v_or_b32_e32 v7, 0x180, v56
	v_mad_u64_u32 v[5:6], s[2:3], s12, v7, 0
	v_add_co_u32_e64 v36, s[2:3], v10, v2
	v_mov_b32_e32 v9, v4
	v_mov_b32_e32 v4, v6
	v_addc_co_u32_e64 v37, s[2:3], v11, v3, s[2:3]
	v_lshlrev_b64 v[2:3], 3, v[8:9]
	v_mad_u64_u32 v[6:7], s[2:3], s13, v7, v[4:5]
	v_add_u32_e32 v9, 0x1e0, v56
	v_mad_u64_u32 v[7:8], s[2:3], s12, v9, 0
	v_add_co_u32_e64 v38, s[2:3], v10, v2
	v_mov_b32_e32 v4, v8
	v_addc_co_u32_e64 v39, s[2:3], v11, v3, s[2:3]
	v_lshlrev_b64 v[2:3], 3, v[5:6]
	v_mad_u64_u32 v[4:5], s[2:3], s13, v9, v[4:5]
	v_add_u32_e32 v9, 0x240, v56
	v_mad_u64_u32 v[5:6], s[2:3], s12, v9, 0
	v_add_co_u32_e64 v40, s[2:3], v10, v2
	v_mov_b32_e32 v8, v4
	v_mov_b32_e32 v4, v6
	v_addc_co_u32_e64 v41, s[2:3], v11, v3, s[2:3]
	v_lshlrev_b64 v[2:3], 3, v[7:8]
	v_mad_u64_u32 v[6:7], s[2:3], s13, v9, v[4:5]
	v_add_u32_e32 v9, 0x2a0, v56
	v_mad_u64_u32 v[7:8], s[2:3], s12, v9, 0
	v_add_co_u32_e64 v42, s[2:3], v10, v2
	v_mov_b32_e32 v4, v8
	v_addc_co_u32_e64 v43, s[2:3], v11, v3, s[2:3]
	v_lshlrev_b64 v[2:3], 3, v[5:6]
	v_mad_u64_u32 v[4:5], s[2:3], s13, v9, v[4:5]
	v_or_b32_e32 v9, 0x300, v56
	v_mad_u64_u32 v[5:6], s[2:3], s12, v9, 0
	v_add_co_u32_e64 v44, s[2:3], v10, v2
	v_mov_b32_e32 v8, v4
	v_mov_b32_e32 v4, v6
	v_addc_co_u32_e64 v45, s[2:3], v11, v3, s[2:3]
	v_lshlrev_b64 v[2:3], 3, v[7:8]
	v_mad_u64_u32 v[6:7], s[2:3], s13, v9, v[4:5]
	v_add_u32_e32 v9, 0x360, v56
	v_mad_u64_u32 v[7:8], s[2:3], s12, v9, 0
	v_add_co_u32_e64 v46, s[2:3], v10, v2
	v_mov_b32_e32 v4, v8
	v_addc_co_u32_e64 v47, s[2:3], v11, v3, s[2:3]
	v_lshlrev_b64 v[2:3], 3, v[5:6]
	v_mad_u64_u32 v[4:5], s[2:3], s13, v9, v[4:5]
	v_add_u32_e32 v9, 0x3c0, v56
	v_mad_u64_u32 v[5:6], s[2:3], s12, v9, 0
	v_add_co_u32_e64 v48, s[2:3], v10, v2
	v_mov_b32_e32 v8, v4
	v_mov_b32_e32 v4, v6
	v_addc_co_u32_e64 v49, s[2:3], v11, v3, s[2:3]
	v_lshlrev_b64 v[2:3], 3, v[7:8]
	v_mad_u64_u32 v[6:7], s[2:3], s13, v9, v[4:5]
	v_add_u32_e32 v9, 0x420, v56
	v_mad_u64_u32 v[7:8], s[2:3], s12, v9, 0
	v_add_co_u32_e64 v50, s[2:3], v10, v2
	;; [unrolled: 30-line block ×3, first 2 shown]
	v_mov_b32_e32 v4, v8
	v_addc_co_u32_e64 v60, s[2:3], v11, v3, s[2:3]
	v_lshlrev_b64 v[2:3], 3, v[5:6]
	v_mad_u64_u32 v[4:5], s[2:3], s13, v9, v[4:5]
	v_or_b32_e32 v9, 0x600, v56
	v_mad_u64_u32 v[5:6], s[2:3], s12, v9, 0
	v_add_co_u32_e64 v61, s[2:3], v10, v2
	v_mov_b32_e32 v8, v4
	v_mov_b32_e32 v4, v6
	v_addc_co_u32_e64 v62, s[2:3], v11, v3, s[2:3]
	v_lshlrev_b64 v[2:3], 3, v[7:8]
	v_mad_u64_u32 v[6:7], s[2:3], s13, v9, v[4:5]
	v_add_co_u32_e64 v63, s[2:3], v10, v2
	v_addc_co_u32_e64 v64, s[2:3], v11, v3, s[2:3]
	v_lshlrev_b64 v[2:3], 3, v[5:6]
	v_add_co_u32_e64 v65, s[2:3], v10, v2
	v_addc_co_u32_e64 v66, s[2:3], v11, v3, s[2:3]
	global_load_dwordx2 v[2:3], v[32:33], off
	global_load_dwordx2 v[4:5], v[34:35], off
	;; [unrolled: 1-line block ×15, first 2 shown]
                                        ; kill: killed $vgpr52 killed $vgpr53
                                        ; kill: killed $vgpr42 killed $vgpr43
                                        ; kill: killed $vgpr32 killed $vgpr33
                                        ; kill: killed $vgpr57 killed $vgpr58
                                        ; kill: killed $vgpr46 killed $vgpr47
                                        ; kill: killed $vgpr36 killed $vgpr37
                                        ; kill: killed $vgpr61 killed $vgpr62
                                        ; kill: killed $vgpr50 killed $vgpr51
                                        ; kill: killed $vgpr40 killed $vgpr41
                                        ; kill: killed $vgpr54 killed $vgpr55
                                        ; kill: killed $vgpr44 killed $vgpr45
                                        ; kill: killed $vgpr34 killed $vgpr35
                                        ; kill: killed $vgpr59 killed $vgpr60
                                        ; kill: killed $vgpr48 killed $vgpr49
                                        ; kill: killed $vgpr38 killed $vgpr39
	global_load_dwordx2 v[32:33], v[63:64], off
	global_load_dwordx2 v[34:35], v[65:66], off
.LBB0_11:
	s_or_b64 exec, exec, s[4:5]
	s_waitcnt vmcnt(0)
	v_sub_f32_e32 v48, v5, v35
	v_add_f32_e32 v36, v4, v34
	s_mov_b32 s2, 0x3f6eb680
	v_mul_f32_e32 v37, 0xbeb8f4ab, v48
	v_fma_f32 v38, v36, s2, -v37
	v_sub_f32_e32 v50, v7, v33
	v_add_f32_e32 v40, v2, v38
	v_add_f32_e32 v38, v6, v32
	s_mov_b32 s2, 0x3f3d2fb0
	v_mul_f32_e32 v39, 0xbf2c7751, v50
	v_fma_f32 v41, v38, s2, -v39
	v_sub_f32_e32 v51, v9, v31
	v_add_f32_e32 v42, v40, v41
	;; [unrolled: 6-line block ×3, first 2 shown]
	s_mov_b32 s2, 0x3dbcf732
	v_add_f32_e32 v42, v10, v28
	v_mul_f32_e32 v43, 0xbf7ee86f, v54
	v_fma_f32 v45, v42, s2, -v43
	v_sub_f32_e32 v58, v13, v27
	v_add_f32_e32 v46, v45, v44
	s_mov_b32 s2, 0xbe8c1d8e
	v_add_f32_e32 v45, v12, v26
	v_mul_f32_e32 v44, 0xbf763a35, v58
	v_fma_f32 v47, v45, s2, -v44
	v_sub_f32_e32 v59, v15, v25
	v_add_f32_e32 v49, v47, v46
	;; [unrolled: 6-line block ×4, first 2 shown]
	s_mov_b32 s2, 0xbf7ba420
	v_add_f32_e32 v55, v18, v20
	v_mul_f32_e32 v53, 0xbe3c28d5, v61
	v_fma_f32 v62, v55, s2, -v53
	v_add_f32_e32 v57, v62, v57
	s_and_saveexec_b64 s[2:3], s[0:1]
	s_cbranch_execz .LBB0_13
; %bb.12:
	v_mul_f32_e32 v62, 0xbf7ba420, v36
	v_mov_b32_e32 v63, v62
	v_mul_f32_e32 v64, 0x3f6eb680, v38
	v_fmac_f32_e32 v63, 0x3e3c28d5, v48
	v_mov_b32_e32 v65, v64
	v_add_f32_e32 v63, v2, v63
	v_fmac_f32_e32 v65, 0xbeb8f4ab, v50
	v_add_f32_e32 v63, v63, v65
	v_mul_f32_e32 v65, 0xbf59a7d5, v40
	v_mov_b32_e32 v66, v65
	v_fmac_f32_e32 v66, 0x3f06c442, v51
	v_add_f32_e32 v63, v66, v63
	v_mul_f32_e32 v66, 0x3f3d2fb0, v42
	v_fmac_f32_e32 v62, 0xbe3c28d5, v48
	v_mov_b32_e32 v67, v66
	v_add_f32_e32 v62, v2, v62
	v_fmac_f32_e32 v64, 0x3eb8f4ab, v50
	v_fmac_f32_e32 v67, 0xbf2c7751, v54
	v_add_f32_e32 v62, v62, v64
	v_fmac_f32_e32 v65, 0xbf06c442, v51
	v_add_f32_e32 v63, v67, v63
	v_mul_f32_e32 v67, 0xbf1a4643, v45
	v_add_f32_e32 v62, v65, v62
	v_fmac_f32_e32 v66, 0x3f2c7751, v54
	v_mul_f32_e32 v64, 0xbf59a7d5, v36
	v_mov_b32_e32 v68, v67
	v_add_f32_e32 v62, v66, v62
	v_fmac_f32_e32 v67, 0xbf4c4adb, v58
	v_mov_b32_e32 v65, v64
	v_mul_f32_e32 v66, 0x3ee437d1, v38
	v_fmac_f32_e32 v68, 0x3f4c4adb, v58
	v_add_f32_e32 v62, v67, v62
	v_fmac_f32_e32 v65, 0x3f06c442, v48
	v_mov_b32_e32 v67, v66
	v_add_f32_e32 v63, v68, v63
	v_mul_f32_e32 v68, 0x3ee437d1, v47
	v_add_f32_e32 v65, v2, v65
	v_fmac_f32_e32 v67, 0xbf65296c, v50
	v_mov_b32_e32 v69, v68
	v_fmac_f32_e32 v68, 0x3f65296c, v59
	v_add_f32_e32 v65, v65, v67
	v_mul_f32_e32 v67, 0x3dbcf732, v40
	v_fmac_f32_e32 v69, 0xbf65296c, v59
	v_add_f32_e32 v62, v68, v62
	v_mov_b32_e32 v68, v67
	v_add_f32_e32 v63, v69, v63
	v_mul_f32_e32 v69, 0xbe8c1d8e, v52
	v_fmac_f32_e32 v68, 0x3f7ee86f, v51
	v_mov_b32_e32 v70, v69
	v_fmac_f32_e32 v69, 0xbf763a35, v60
	v_add_f32_e32 v65, v68, v65
	v_mul_f32_e32 v68, 0xbf1a4643, v42
	v_fmac_f32_e32 v64, 0xbf06c442, v48
	v_fmac_f32_e32 v70, 0x3f763a35, v60
	v_add_f32_e32 v62, v69, v62
	v_mov_b32_e32 v69, v68
	v_add_f32_e32 v64, v2, v64
	v_fmac_f32_e32 v66, 0x3f65296c, v50
	v_add_f32_e32 v63, v70, v63
	v_mul_f32_e32 v70, 0x3dbcf732, v55
	v_fmac_f32_e32 v69, 0xbf4c4adb, v54
	v_add_f32_e32 v64, v64, v66
	v_fmac_f32_e32 v67, 0xbf7ee86f, v51
	v_mov_b32_e32 v71, v70
	v_fmac_f32_e32 v70, 0x3f7ee86f, v61
	v_add_f32_e32 v65, v69, v65
	v_mul_f32_e32 v69, 0x3f6eb680, v45
	v_add_f32_e32 v64, v67, v64
	v_fmac_f32_e32 v68, 0x3f4c4adb, v54
	v_mul_f32_e32 v66, 0xbf1a4643, v36
	v_add_f32_e32 v62, v70, v62
	v_mov_b32_e32 v70, v69
	v_add_f32_e32 v64, v68, v64
	v_fmac_f32_e32 v69, 0xbeb8f4ab, v58
	v_mov_b32_e32 v67, v66
	v_mul_f32_e32 v68, 0xbe8c1d8e, v38
	v_fmac_f32_e32 v70, 0x3eb8f4ab, v58
	v_add_f32_e32 v64, v69, v64
	v_fmac_f32_e32 v67, 0x3f4c4adb, v48
	v_mov_b32_e32 v69, v68
	v_fmac_f32_e32 v71, 0xbf7ee86f, v61
	v_add_f32_e32 v65, v70, v65
	v_mul_f32_e32 v70, 0xbf7ba420, v47
	v_add_f32_e32 v67, v2, v67
	v_fmac_f32_e32 v69, 0xbf763a35, v50
	v_add_f32_e32 v63, v71, v63
	v_mov_b32_e32 v71, v70
	v_fmac_f32_e32 v70, 0xbe3c28d5, v59
	v_add_f32_e32 v67, v67, v69
	v_mul_f32_e32 v69, 0x3f6eb680, v40
	v_fmac_f32_e32 v71, 0x3e3c28d5, v59
	v_add_f32_e32 v64, v70, v64
	v_mov_b32_e32 v70, v69
	v_add_f32_e32 v65, v71, v65
	v_mul_f32_e32 v71, 0x3f3d2fb0, v52
	v_fmac_f32_e32 v70, 0x3eb8f4ab, v51
	v_mov_b32_e32 v72, v71
	v_fmac_f32_e32 v71, 0x3f2c7751, v60
	v_add_f32_e32 v67, v70, v67
	v_mul_f32_e32 v70, 0xbf59a7d5, v42
	v_fmac_f32_e32 v66, 0xbf4c4adb, v48
	v_fmac_f32_e32 v72, 0xbf2c7751, v60
	v_add_f32_e32 v64, v71, v64
	v_mov_b32_e32 v71, v70
	v_add_f32_e32 v66, v2, v66
	v_fmac_f32_e32 v68, 0x3f763a35, v50
	v_add_f32_e32 v65, v72, v65
	v_mul_f32_e32 v72, 0xbe8c1d8e, v55
	v_fmac_f32_e32 v71, 0x3f06c442, v54
	v_add_f32_e32 v66, v66, v68
	v_fmac_f32_e32 v69, 0xbeb8f4ab, v51
	v_mov_b32_e32 v73, v72
	v_fmac_f32_e32 v72, 0xbf763a35, v61
	v_add_f32_e32 v67, v71, v67
	v_mul_f32_e32 v71, 0x3dbcf732, v45
	v_add_f32_e32 v66, v69, v66
	v_fmac_f32_e32 v70, 0xbf06c442, v54
	v_mul_f32_e32 v68, 0xbe8c1d8e, v36
	v_add_f32_e32 v64, v72, v64
	v_mov_b32_e32 v72, v71
	v_add_f32_e32 v66, v70, v66
	v_fmac_f32_e32 v71, 0x3f7ee86f, v58
	v_mov_b32_e32 v69, v68
	v_mul_f32_e32 v70, 0xbf59a7d5, v38
	v_fmac_f32_e32 v72, 0xbf7ee86f, v58
	v_add_f32_e32 v66, v71, v66
	v_fmac_f32_e32 v69, 0x3f763a35, v48
	v_mov_b32_e32 v71, v70
	v_fmac_f32_e32 v73, 0x3f763a35, v61
	v_add_f32_e32 v67, v72, v67
	v_mul_f32_e32 v72, 0x3f3d2fb0, v47
	v_add_f32_e32 v69, v2, v69
	v_fmac_f32_e32 v71, 0xbf06c442, v50
	v_add_f32_e32 v65, v73, v65
	;; [unrolled: 48-line block ×5, first 2 shown]
	v_mov_b32_e32 v79, v78
	v_fmac_f32_e32 v78, 0xbeb8f4ab, v59
	v_add_f32_e32 v75, v75, v77
	v_mul_f32_e32 v77, 0xbf1a4643, v40
	v_mul_f32_e32 v36, 0x3f6eb680, v36
	v_fmac_f32_e32 v79, 0x3eb8f4ab, v59
	v_add_f32_e32 v72, v78, v72
	v_mov_b32_e32 v78, v77
	v_fmac_f32_e32 v74, 0xbf2c7751, v48
	v_add_f32_e32 v36, v37, v36
	v_add_f32_e32 v73, v79, v73
	v_mul_f32_e32 v79, 0x3dbcf732, v52
	v_fmac_f32_e32 v78, 0x3f4c4adb, v51
	v_add_f32_e32 v48, v2, v74
	v_add_f32_e32 v36, v2, v36
	;; [unrolled: 1-line block ×3, first 2 shown]
	v_mov_b32_e32 v80, v79
	v_fmac_f32_e32 v79, 0xbf7ee86f, v60
	v_add_f32_e32 v75, v78, v75
	v_mul_f32_e32 v78, 0xbf7ba420, v42
	v_add_f32_e32 v2, v2, v6
	v_fmac_f32_e32 v80, 0x3f7ee86f, v60
	v_add_f32_e32 v72, v79, v72
	v_mov_b32_e32 v79, v78
	v_add_f32_e32 v2, v2, v8
	v_add_f32_e32 v73, v80, v73
	v_mul_f32_e32 v80, 0xbf59a7d5, v55
	v_fmac_f32_e32 v79, 0x3e3c28d5, v54
	v_add_f32_e32 v2, v2, v10
	v_mov_b32_e32 v81, v80
	v_fmac_f32_e32 v80, 0xbf06c442, v61
	v_add_f32_e32 v75, v79, v75
	v_mul_f32_e32 v79, 0xbf59a7d5, v45
	v_add_f32_e32 v2, v2, v12
	v_add_f32_e32 v72, v80, v72
	v_mov_b32_e32 v80, v79
	v_mul_f32_e32 v37, 0x3f3d2fb0, v38
	v_add_f32_e32 v2, v2, v14
	v_fmac_f32_e32 v80, 0xbf06c442, v58
	v_add_f32_e32 v37, v39, v37
	v_add_f32_e32 v2, v2, v16
	v_fmac_f32_e32 v81, 0x3f06c442, v61
	v_add_f32_e32 v75, v80, v75
	v_mul_f32_e32 v80, 0xbe8c1d8e, v47
	v_add_f32_e32 v36, v36, v37
	v_mul_f32_e32 v37, 0x3ee437d1, v40
	v_add_f32_e32 v2, v2, v18
	v_add_f32_e32 v73, v81, v73
	v_mov_b32_e32 v81, v80
	v_add_f32_e32 v37, v41, v37
	v_add_f32_e32 v2, v2, v20
	v_fmac_f32_e32 v81, 0xbf763a35, v59
	v_fmac_f32_e32 v76, 0xbf7ee86f, v50
	v_add_f32_e32 v36, v37, v36
	v_mul_f32_e32 v37, 0x3dbcf732, v42
	v_add_f32_e32 v2, v2, v22
	v_add_f32_e32 v75, v81, v75
	v_mul_f32_e32 v81, 0x3ee437d1, v52
	v_add_f32_e32 v48, v48, v76
	v_fmac_f32_e32 v77, 0xbf4c4adb, v51
	v_add_f32_e32 v37, v43, v37
	v_mul_f32_e32 v38, 0xbe8c1d8e, v45
	v_add_f32_e32 v2, v2, v24
	v_mov_b32_e32 v82, v81
	v_add_f32_e32 v48, v77, v48
	v_fmac_f32_e32 v78, 0xbe3c28d5, v54
	v_mul_f32_e32 v39, 0xbf1a4643, v47
	v_add_f32_e32 v36, v37, v36
	v_add_f32_e32 v37, v44, v38
	;; [unrolled: 1-line block ×3, first 2 shown]
	v_fmac_f32_e32 v82, 0xbf65296c, v60
	v_add_f32_e32 v48, v78, v48
	v_fmac_f32_e32 v79, 0x3f06c442, v58
	v_mul_f32_e32 v40, 0xbf59a7d5, v52
	v_add_f32_e32 v36, v37, v36
	v_add_f32_e32 v37, v46, v39
	;; [unrolled: 1-line block ×4, first 2 shown]
	v_mul_f32_e32 v82, 0x3f6eb680, v55
	v_add_f32_e32 v48, v79, v48
	v_fmac_f32_e32 v80, 0x3f763a35, v59
	v_mul_f32_e32 v41, 0xbf7ba420, v55
	v_add_f32_e32 v36, v37, v36
	v_add_f32_e32 v37, v49, v40
	;; [unrolled: 1-line block ×3, first 2 shown]
	v_mov_b32_e32 v83, v82
	v_add_f32_e32 v48, v80, v48
	v_fmac_f32_e32 v81, 0x3f65296c, v60
	v_add_f32_e32 v36, v37, v36
	v_add_f32_e32 v37, v53, v41
	;; [unrolled: 1-line block ×3, first 2 shown]
	s_movk_i32 s4, 0x44
	v_fmac_f32_e32 v83, 0xbeb8f4ab, v61
	v_add_f32_e32 v48, v81, v48
	v_fmac_f32_e32 v82, 0x3eb8f4ab, v61
	v_add_f32_e32 v36, v37, v36
	v_add_f32_e32 v2, v34, v2
	v_mad_u32_u24 v37, v56, s4, 0
	v_add_f32_e32 v75, v83, v75
	v_add_f32_e32 v48, v82, v48
	ds_write2_b32 v37, v2, v36 offset1:1
	ds_write2_b32 v37, v48, v72 offset0:2 offset1:3
	ds_write2_b32 v37, v70, v68 offset0:4 offset1:5
	;; [unrolled: 1-line block ×7, first 2 shown]
	ds_write_b32 v37, v57 offset:64
.LBB0_13:
	s_or_b64 exec, exec, s[2:3]
	v_sub_f32_e32 v67, v4, v34
	v_mul_f32_e32 v69, 0xbeb8f4ab, v67
	v_sub_f32_e32 v62, v6, v32
	v_add_f32_e32 v66, v5, v35
	v_mov_b32_e32 v2, v69
	v_mul_f32_e32 v68, 0xbf2c7751, v62
	v_fmac_f32_e32 v2, 0x3f6eb680, v66
	v_add_f32_e32 v61, v7, v33
	v_mov_b32_e32 v4, v68
	v_sub_f32_e32 v58, v8, v30
	v_add_f32_e32 v2, v3, v2
	v_fmac_f32_e32 v4, 0x3f3d2fb0, v61
	v_mul_f32_e32 v65, 0xbf65296c, v58
	v_add_f32_e32 v2, v2, v4
	v_add_f32_e32 v55, v9, v31
	v_mov_b32_e32 v4, v65
	v_sub_f32_e32 v53, v10, v28
	v_fmac_f32_e32 v4, 0x3ee437d1, v55
	v_mul_f32_e32 v60, 0xbf7ee86f, v53
	v_add_f32_e32 v2, v4, v2
	v_add_f32_e32 v52, v11, v29
	v_mov_b32_e32 v4, v60
	v_sub_f32_e32 v32, v12, v26
	v_fmac_f32_e32 v4, 0x3dbcf732, v52
	v_mul_f32_e32 v54, 0xbf763a35, v32
	v_add_f32_e32 v2, v4, v2
	v_add_f32_e32 v30, v13, v27
	v_mov_b32_e32 v4, v54
	v_sub_f32_e32 v24, v14, v24
	v_fmac_f32_e32 v4, 0xbe8c1d8e, v30
	v_mul_f32_e32 v34, 0xbf4c4adb, v24
	v_add_f32_e32 v2, v4, v2
	v_add_f32_e32 v26, v15, v25
	v_mov_b32_e32 v4, v34
	v_sub_f32_e32 v22, v16, v22
	v_fmac_f32_e32 v4, 0xbf1a4643, v26
	v_mul_f32_e32 v28, 0xbf06c442, v22
	v_add_f32_e32 v2, v4, v2
	v_add_f32_e32 v6, v17, v23
	v_mov_b32_e32 v4, v28
	v_fmac_f32_e32 v4, 0xbf59a7d5, v6
	v_lshl_add_u32 v59, v56, 2, 0
	v_add_f32_e32 v63, v4, v2
	v_sub_f32_e32 v4, v18, v20
	v_add_u32_e32 v14, 0xc00, v59
	v_add_u32_e32 v10, 0x200, v59
	;; [unrolled: 1-line block ×7, first 2 shown]
	s_waitcnt lgkmcnt(0)
	s_barrier
	ds_read2_b32 v[42:43], v59 offset1:102
	ds_read2_b32 v[48:49], v14 offset0:48 offset1:150
	ds_read2_b32 v[40:41], v10 offset0:76 offset1:178
	;; [unrolled: 1-line block ×7, first 2 shown]
	v_mul_f32_e32 v20, 0xbe3c28d5, v4
	v_add_f32_e32 v2, v19, v21
	v_mov_b32_e32 v70, v20
	v_fmac_f32_e32 v70, 0xbf7ba420, v2
	v_add_f32_e32 v63, v70, v63
	s_waitcnt lgkmcnt(0)
	s_barrier
	s_and_saveexec_b64 s[2:3], s[0:1]
	s_cbranch_execz .LBB0_15
; %bb.14:
	v_add_f32_e32 v5, v3, v5
	v_add_f32_e32 v5, v5, v7
	;; [unrolled: 1-line block ×14, first 2 shown]
	v_mul_f32_e32 v70, 0x3f6eb680, v66
	v_add_f32_e32 v5, v5, v33
	v_mul_f32_e32 v9, 0xbf2c7751, v67
	s_mov_b32 s4, 0x3f3d2fb0
	v_mul_f32_e32 v13, 0xbf65296c, v67
	s_mov_b32 s1, 0x3ee437d1
	;; [unrolled: 2-line block ×7, first 2 shown]
	v_mul_f32_e32 v71, 0x3f3d2fb0, v61
	v_add_f32_e32 v5, v35, v5
	v_sub_f32_e32 v7, v70, v69
	v_fma_f32 v11, v66, s4, -v9
	v_fmac_f32_e32 v9, 0x3f3d2fb0, v66
	v_fma_f32 v15, v66, s1, -v13
	v_fmac_f32_e32 v13, 0x3ee437d1, v66
	;; [unrolled: 2-line block ×7, first 2 shown]
	v_add_f32_e32 v7, v3, v7
	v_add_f32_e32 v11, v3, v11
	;; [unrolled: 1-line block ×15, first 2 shown]
	v_sub_f32_e32 v33, v71, v68
	v_add_f32_e32 v7, v7, v33
	v_mul_f32_e32 v33, 0xbf7ee86f, v62
	v_fma_f32 v66, v61, s0, -v33
	v_fmac_f32_e32 v33, 0x3dbcf732, v61
	v_add_f32_e32 v9, v9, v33
	v_mul_f32_e32 v33, 0xbf4c4adb, v62
	v_add_f32_e32 v11, v11, v66
	v_fma_f32 v66, v61, s6, -v33
	v_fmac_f32_e32 v33, 0xbf1a4643, v61
	v_add_f32_e32 v13, v13, v33
	v_mul_f32_e32 v33, 0xbe3c28d5, v62
	v_add_f32_e32 v15, v15, v66
	;; [unrolled: 5-line block ×5, first 2 shown]
	v_fma_f32 v66, v61, s1, -v33
	v_fmac_f32_e32 v33, 0x3ee437d1, v61
	v_add_f32_e32 v29, v29, v33
	v_mul_f32_e32 v33, 0x3eb8f4ab, v62
	s_mov_b32 s11, 0x3f6eb680
	v_mul_f32_e32 v72, 0x3ee437d1, v55
	v_fma_f32 v62, v61, s11, -v33
	v_fmac_f32_e32 v33, 0x3f6eb680, v61
	v_add_f32_e32 v3, v3, v33
	v_sub_f32_e32 v33, v72, v65
	v_add_f32_e32 v7, v33, v7
	v_mul_f32_e32 v33, 0xbf4c4adb, v58
	v_fma_f32 v61, v55, s6, -v33
	v_fmac_f32_e32 v33, 0xbf1a4643, v55
	v_add_f32_e32 v9, v33, v9
	v_mul_f32_e32 v33, 0x3e3c28d5, v58
	v_add_f32_e32 v11, v61, v11
	v_fma_f32 v61, v55, s10, -v33
	v_fmac_f32_e32 v33, 0xbf7ba420, v55
	v_add_f32_e32 v13, v33, v13
	v_mul_f32_e32 v33, 0x3f763a35, v58
	v_add_f32_e32 v15, v61, v15
	;; [unrolled: 5-line block ×5, first 2 shown]
	v_fma_f32 v61, v55, s0, -v33
	v_fmac_f32_e32 v33, 0x3dbcf732, v55
	v_add_f32_e32 v29, v33, v29
	v_mul_f32_e32 v33, 0xbf06c442, v58
	v_mul_f32_e32 v73, 0x3dbcf732, v52
	v_fma_f32 v58, v55, s7, -v33
	v_fmac_f32_e32 v33, 0xbf59a7d5, v55
	v_add_f32_e32 v3, v33, v3
	v_sub_f32_e32 v33, v73, v60
	v_add_f32_e32 v7, v33, v7
	v_mul_f32_e32 v33, 0xbe3c28d5, v53
	v_fma_f32 v55, v52, s10, -v33
	v_fmac_f32_e32 v33, 0xbf7ba420, v52
	v_add_f32_e32 v9, v33, v9
	v_mul_f32_e32 v33, 0x3f763a35, v53
	v_add_f32_e32 v11, v55, v11
	v_fma_f32 v55, v52, s5, -v33
	v_fmac_f32_e32 v33, 0xbe8c1d8e, v52
	v_add_f32_e32 v13, v33, v13
	v_mul_f32_e32 v33, 0x3eb8f4ab, v53
	v_add_f32_e32 v15, v55, v15
	;; [unrolled: 5-line block ×5, first 2 shown]
	v_fma_f32 v55, v52, s6, -v33
	v_fmac_f32_e32 v33, 0xbf1a4643, v52
	v_add_f32_e32 v29, v33, v29
	v_mul_f32_e32 v33, 0x3f2c7751, v53
	v_mul_f32_e32 v74, 0xbe8c1d8e, v30
	v_fma_f32 v53, v52, s4, -v33
	v_fmac_f32_e32 v33, 0x3f3d2fb0, v52
	v_add_f32_e32 v3, v33, v3
	v_sub_f32_e32 v33, v74, v54
	v_add_f32_e32 v7, v33, v7
	v_mul_f32_e32 v33, 0x3f06c442, v32
	v_fma_f32 v52, v30, s7, -v33
	v_fmac_f32_e32 v33, 0xbf59a7d5, v30
	v_add_f32_e32 v9, v33, v9
	v_mul_f32_e32 v33, 0x3f2c7751, v32
	v_add_f32_e32 v11, v52, v11
	v_fma_f32 v52, v30, s4, -v33
	v_fmac_f32_e32 v33, 0x3f3d2fb0, v30
	v_add_f32_e32 v13, v33, v13
	v_mul_f32_e32 v33, 0xbf65296c, v32
	v_add_f32_e32 v15, v52, v15
	;; [unrolled: 5-line block ×4, first 2 shown]
	v_fma_f32 v52, v30, s0, -v33
	v_fmac_f32_e32 v33, 0x3dbcf732, v30
	v_add_f32_e32 v25, v33, v25
	v_mul_f32_e32 v33, 0xbeb8f4ab, v32
	v_mul_f32_e32 v75, 0xbf1a4643, v26
	v_add_f32_e32 v27, v52, v27
	v_fma_f32 v52, v30, s11, -v33
	v_fmac_f32_e32 v33, 0x3f6eb680, v30
	v_mul_f32_e32 v32, 0xbf4c4adb, v32
	v_add_f32_e32 v29, v33, v29
	v_fma_f32 v33, v30, s6, -v32
	v_fmac_f32_e32 v32, 0xbf1a4643, v30
	v_sub_f32_e32 v30, v75, v34
	v_add_f32_e32 v7, v30, v7
	v_mul_f32_e32 v30, 0x3f763a35, v24
	v_add_f32_e32 v3, v32, v3
	v_fma_f32 v32, v26, s5, -v30
	v_fmac_f32_e32 v30, 0xbe8c1d8e, v26
	v_add_f32_e32 v9, v30, v9
	v_mul_f32_e32 v30, 0xbeb8f4ab, v24
	v_add_f32_e32 v11, v32, v11
	v_fma_f32 v32, v26, s11, -v30
	v_fmac_f32_e32 v30, 0x3f6eb680, v26
	;; [unrolled: 5-line block ×6, first 2 shown]
	v_mul_f32_e32 v24, 0x3f65296c, v24
	v_mul_f32_e32 v76, 0xbf59a7d5, v6
	v_add_f32_e32 v29, v30, v29
	v_fma_f32 v30, v26, s1, -v24
	v_fmac_f32_e32 v24, 0x3ee437d1, v26
	v_add_f32_e32 v3, v24, v3
	v_sub_f32_e32 v24, v76, v28
	v_add_f32_e32 v7, v24, v7
	v_mul_f32_e32 v24, 0x3f65296c, v22
	v_fma_f32 v26, v6, s1, -v24
	v_fmac_f32_e32 v24, 0x3ee437d1, v6
	v_add_f32_e32 v9, v24, v9
	v_mul_f32_e32 v24, 0xbf7ee86f, v22
	v_add_f32_e32 v11, v26, v11
	v_fma_f32 v26, v6, s0, -v24
	v_fmac_f32_e32 v24, 0x3dbcf732, v6
	v_add_f32_e32 v13, v24, v13
	v_mul_f32_e32 v24, 0x3f4c4adb, v22
	v_add_f32_e32 v15, v26, v15
	;; [unrolled: 5-line block ×4, first 2 shown]
	v_fma_f32 v26, v6, s10, -v24
	v_fmac_f32_e32 v24, 0xbf7ba420, v6
	v_mul_f32_e32 v77, 0xbf7ba420, v2
	v_add_f32_e32 v24, v24, v25
	v_mul_f32_e32 v25, 0x3f2c7751, v22
	v_mul_f32_e32 v22, 0xbf763a35, v22
	v_add_f32_e32 v26, v26, v27
	v_fma_f32 v27, v6, s4, -v25
	v_fmac_f32_e32 v25, 0x3f3d2fb0, v6
	v_fma_f32 v28, v6, s5, -v22
	v_fmac_f32_e32 v22, 0xbe8c1d8e, v6
	v_sub_f32_e32 v6, v77, v20
	v_add_f32_e32 v6, v6, v7
	v_mul_f32_e32 v7, 0x3eb8f4ab, v4
	v_fma_f32 v20, v2, s11, -v7
	v_fmac_f32_e32 v7, 0x3f6eb680, v2
	v_add_f32_e32 v7, v7, v9
	v_mul_f32_e32 v9, 0xbf06c442, v4
	v_add_f32_e32 v11, v20, v11
	v_fma_f32 v20, v2, s7, -v9
	v_fmac_f32_e32 v9, 0xbf59a7d5, v2
	v_add_f32_e32 v9, v9, v13
	v_mul_f32_e32 v13, 0x3f2c7751, v4
	v_add_f32_e32 v15, v20, v15
	;; [unrolled: 5-line block ×3, first 2 shown]
	v_add_f32_e32 v35, v35, v62
	v_add_f32_e32 v19, v20, v19
	v_fma_f32 v20, v2, s6, -v17
	v_fmac_f32_e32 v17, 0xbf1a4643, v2
	v_add_f32_e32 v31, v61, v31
	v_add_f32_e32 v35, v58, v35
	;; [unrolled: 1-line block ×3, first 2 shown]
	v_mul_f32_e32 v21, 0x3f65296c, v4
	v_add_f32_e32 v31, v55, v31
	v_add_f32_e32 v35, v53, v35
	;; [unrolled: 1-line block ×4, first 2 shown]
	v_fma_f32 v22, v2, s1, -v21
	v_fmac_f32_e32 v21, 0x3ee437d1, v2
	v_mul_f32_e32 v23, 0xbf763a35, v4
	v_add_f32_e32 v31, v52, v31
	v_add_f32_e32 v33, v33, v35
	;; [unrolled: 1-line block ×4, first 2 shown]
	v_fma_f32 v24, v2, s5, -v23
	v_fmac_f32_e32 v23, 0xbe8c1d8e, v2
	v_mul_f32_e32 v4, 0x3f7ee86f, v4
	v_add_f32_e32 v31, v32, v31
	v_add_f32_e32 v30, v30, v33
	;; [unrolled: 1-line block ×3, first 2 shown]
	v_fma_f32 v25, v2, s0, -v4
	v_fmac_f32_e32 v4, 0x3dbcf732, v2
	v_add_f32_e32 v27, v27, v31
	v_add_f32_e32 v28, v28, v30
	;; [unrolled: 1-line block ×3, first 2 shown]
	v_lshl_add_u32 v3, v56, 6, v59
	v_add_f32_e32 v22, v22, v26
	v_add_f32_e32 v24, v24, v27
	;; [unrolled: 1-line block ×3, first 2 shown]
	ds_write2_b32 v3, v5, v6 offset1:1
	ds_write2_b32 v3, v11, v15 offset0:2 offset1:3
	ds_write2_b32 v3, v19, v20 offset0:4 offset1:5
	;; [unrolled: 1-line block ×7, first 2 shown]
	ds_write_b32 v3, v63 offset:64
.LBB0_15:
	s_or_b64 exec, exec, s[2:3]
	s_movk_i32 s0, 0xf1
	v_add_u32_e32 v58, 0x66, v56
	v_mul_lo_u16_sdwa v9, v56, s0 dst_sel:DWORD dst_unused:UNUSED_PAD src0_sel:BYTE_0 src1_sel:DWORD
	v_add_u32_e32 v61, 0xcc, v56
	v_lshrrev_b16_e32 v11, 12, v9
	v_mul_lo_u16_sdwa v35, v58, s0 dst_sel:DWORD dst_unused:UNUSED_PAD src0_sel:BYTE_0 src1_sel:DWORD
	s_mov_b32 s0, 0xf0f1
	v_add_u32_e32 v66, 0x132, v56
	v_mul_lo_u16_e32 v2, 17, v11
	v_lshrrev_b16_e32 v73, 12, v35
	v_mul_u32_u24_sdwa v75, v61, s0 dst_sel:DWORD dst_unused:UNUSED_PAD src0_sel:WORD_0 src1_sel:DWORD
	v_sub_u16_e32 v13, v56, v2
	v_mul_lo_u16_e32 v2, 17, v73
	v_lshrrev_b32_e32 v76, 20, v75
	v_mul_u32_u24_sdwa v78, v66, s0 dst_sel:DWORD dst_unused:UNUSED_PAD src0_sel:WORD_0 src1_sel:DWORD
	v_sub_u16_e32 v74, v58, v2
	v_mul_lo_u16_e32 v2, 17, v76
	v_lshrrev_b32_e32 v79, 20, v78
	v_mov_b32_e32 v15, 3
	v_sub_u16_e32 v77, v61, v2
	v_mul_lo_u16_e32 v2, 17, v79
	v_add_u32_e32 v60, 0x198, v56
	v_add_u32_e32 v65, 0x1fe, v56
	v_lshlrev_b32_sdwa v17, v15, v13 dst_sel:DWORD dst_unused:UNUSED_PAD src0_sel:DWORD src1_sel:BYTE_0
	v_sub_u16_e32 v80, v66, v2
	s_waitcnt lgkmcnt(0)
	s_barrier
	v_lshlrev_b32_sdwa v21, v15, v74 dst_sel:DWORD dst_unused:UNUSED_PAD src0_sel:DWORD src1_sel:BYTE_0
	v_lshlrev_b32_e32 v22, 3, v77
	v_lshlrev_b32_e32 v23, 3, v80
	global_load_dwordx2 v[2:3], v17, s[8:9]
	global_load_dwordx2 v[4:5], v21, s[8:9]
	;; [unrolled: 1-line block ×4, first 2 shown]
	v_mul_u32_u24_sdwa v17, v60, s0 dst_sel:DWORD dst_unused:UNUSED_PAD src0_sel:WORD_0 src1_sel:DWORD
	v_add_u32_e32 v62, 0x264, v56
	v_mul_u32_u24_sdwa v84, v65, s0 dst_sel:DWORD dst_unused:UNUSED_PAD src0_sel:WORD_0 src1_sel:DWORD
	v_lshrrev_b32_e32 v81, 20, v17
	v_add_u32_e32 v83, 0x2ca, v56
	v_lshrrev_b32_e32 v85, 20, v84
	v_mul_u32_u24_sdwa v87, v62, s0 dst_sel:DWORD dst_unused:UNUSED_PAD src0_sel:WORD_0 src1_sel:DWORD
	v_mul_lo_u16_e32 v21, 17, v81
	v_mul_lo_u16_e32 v23, 17, v85
	v_lshrrev_b32_e32 v88, 20, v87
	v_mul_u32_u24_sdwa v90, v83, s0 dst_sel:DWORD dst_unused:UNUSED_PAD src0_sel:WORD_0 src1_sel:DWORD
	v_sub_u16_e32 v82, v60, v21
	v_sub_u16_e32 v86, v65, v23
	v_mul_lo_u16_e32 v24, 17, v88
	v_lshrrev_b32_e32 v91, 20, v90
	v_lshlrev_b32_e32 v21, 3, v82
	v_lshlrev_b32_e32 v23, 3, v86
	v_sub_u16_e32 v89, v62, v24
	v_mul_lo_u16_e32 v27, 17, v91
	global_load_dwordx2 v[21:22], v21, s[8:9]
	v_lshlrev_b32_e32 v25, 3, v89
	global_load_dwordx2 v[23:24], v23, s[8:9]
	v_sub_u16_e32 v92, v83, v27
	global_load_dwordx2 v[25:26], v25, s[8:9]
	v_lshlrev_b32_e32 v27, 3, v92
	global_load_dwordx2 v[27:28], v27, s[8:9]
	ds_read2_b32 v[29:30], v59 offset1:102
	ds_read2_b32 v[31:32], v14 offset0:48 offset1:150
	ds_read2_b32 v[33:34], v10 offset0:76 offset1:178
	;; [unrolled: 1-line block ×7, first 2 shown]
	v_mul_u32_u24_e32 v11, 0x88, v11
	s_waitcnt vmcnt(0) lgkmcnt(0)
	s_barrier
	v_lshrrev_b16_e32 v9, 13, v9
	v_cmp_gt_u32_e64 s[0:1], 34, v56
	v_mul_f32_e32 v93, v31, v3
	v_mul_f32_e32 v3, v48, v3
	;; [unrolled: 1-line block ×8, first 2 shown]
	v_fmac_f32_e32 v93, v48, v2
	v_fma_f32 v2, v31, v2, -v3
	v_fmac_f32_e32 v94, v49, v4
	v_fma_f32 v3, v32, v4, -v5
	v_fma_f32 v4, v52, v6, -v7
	v_fmac_f32_e32 v96, v51, v19
	v_fma_f32 v5, v53, v19, -v20
	v_fmac_f32_e32 v95, v50, v6
	v_sub_f32_e32 v31, v33, v4
	v_fma_f32 v32, v33, 2.0, -v31
	v_sub_f32_e32 v33, v41, v96
	v_mul_f32_e32 v97, v67, v22
	v_mul_f32_e32 v22, v46, v22
	;; [unrolled: 1-line block ×4, first 2 shown]
	v_sub_f32_e32 v24, v42, v93
	v_mov_b32_e32 v93, 2
	v_fmac_f32_e32 v97, v46, v21
	v_fma_f32 v6, v67, v21, -v22
	v_mul_f32_e32 v20, v71, v26
	v_mul_f32_e32 v21, v44, v26
	v_lshlrev_b32_sdwa v13, v93, v13 dst_sel:DWORD dst_unused:UNUSED_PAD src0_sel:DWORD src1_sel:BYTE_0
	v_fmac_f32_e32 v7, v47, v23
	v_fma_f32 v19, v68, v23, -v19
	v_fmac_f32_e32 v20, v44, v25
	v_fma_f32 v21, v71, v25, -v21
	v_mul_f32_e32 v22, v72, v28
	v_mul_f32_e32 v23, v45, v28
	v_sub_f32_e32 v25, v29, v2
	v_fma_f32 v2, v42, 2.0, -v24
	v_add3_u32 v11, 0, v11, v13
	v_fmac_f32_e32 v22, v45, v27
	v_fma_f32 v23, v72, v27, -v23
	v_sub_f32_e32 v27, v43, v94
	ds_write2_b32 v11, v2, v24 offset1:17
	v_mul_u32_u24_e32 v2, 0x88, v73
	v_lshlrev_b32_sdwa v13, v93, v74 dst_sel:DWORD dst_unused:UNUSED_PAD src0_sel:DWORD src1_sel:BYTE_0
	v_sub_f32_e32 v28, v30, v3
	v_fma_f32 v3, v43, 2.0, -v27
	v_add3_u32 v13, 0, v2, v13
	ds_write2_b32 v13, v3, v27 offset1:17
	v_mul_u32_u24_e32 v2, 0x88, v76
	v_lshlrev_b32_e32 v3, 2, v77
	v_fma_f32 v26, v29, 2.0, -v25
	v_fma_f32 v29, v30, 2.0, -v28
	v_sub_f32_e32 v30, v40, v95
	v_add3_u32 v24, 0, v2, v3
	v_mul_u32_u24_e32 v2, 0x88, v79
	v_lshlrev_b32_e32 v3, 2, v80
	v_fma_f32 v4, v40, 2.0, -v30
	v_add3_u32 v27, 0, v2, v3
	v_mul_u32_u24_e32 v2, 0x88, v81
	v_lshlrev_b32_e32 v3, 2, v82
	v_sub_f32_e32 v40, v34, v5
	v_fma_f32 v5, v41, 2.0, -v33
	v_sub_f32_e32 v41, v38, v97
	ds_write2_b32 v24, v4, v30 offset1:17
	v_add3_u32 v30, 0, v2, v3
	v_mul_u32_u24_e32 v2, 0x88, v85
	v_lshlrev_b32_e32 v3, 2, v86
	v_sub_f32_e32 v42, v54, v6
	v_fma_f32 v6, v38, 2.0, -v41
	v_sub_f32_e32 v7, v39, v7
	v_sub_f32_e32 v20, v36, v20
	ds_write2_b32 v27, v5, v33 offset1:17
	v_add3_u32 v33, 0, v2, v3
	v_mul_u32_u24_e32 v2, 0x88, v88
	v_lshlrev_b32_e32 v3, 2, v89
	v_sub_f32_e32 v43, v55, v19
	v_fma_f32 v19, v39, 2.0, -v7
	v_fma_f32 v36, v36, 2.0, -v20
	v_sub_f32_e32 v22, v37, v22
	ds_write2_b32 v30, v6, v41 offset1:17
	v_add3_u32 v41, 0, v2, v3
	v_mul_u32_u24_e32 v2, 0x88, v91
	v_lshlrev_b32_e32 v3, 2, v92
	v_sub_f32_e32 v21, v69, v21
	v_sub_f32_e32 v45, v70, v23
	v_fma_f32 v23, v37, 2.0, -v22
	ds_write2_b32 v33, v19, v7 offset1:17
	ds_write2_b32 v41, v36, v20 offset1:17
	v_add3_u32 v36, 0, v2, v3
	v_fma_f32 v34, v34, 2.0, -v40
	v_fma_f32 v38, v54, 2.0, -v42
	;; [unrolled: 1-line block ×5, first 2 shown]
	ds_write2_b32 v36, v23, v22 offset1:17
	s_waitcnt lgkmcnt(0)
	s_barrier
	ds_read2_b32 v[19:20], v59 offset1:102
	ds_read2_b32 v[22:23], v14 offset0:48 offset1:150
	ds_read2_b32 v[67:68], v10 offset0:76 offset1:178
	;; [unrolled: 1-line block ×7, first 2 shown]
	s_waitcnt lgkmcnt(0)
	s_barrier
	ds_write2_b32 v11, v26, v25 offset1:17
	ds_write2_b32 v13, v29, v28 offset1:17
	;; [unrolled: 1-line block ×8, first 2 shown]
	v_lshrrev_b16_e32 v21, 13, v35
	v_mul_lo_u16_e32 v24, 34, v21
	v_lshrrev_b32_e32 v74, 21, v75
	v_mul_lo_u16_e32 v11, 34, v9
	v_sub_u16_e32 v73, v58, v24
	v_mul_lo_u16_e32 v24, 34, v74
	v_lshrrev_b32_e32 v76, 21, v78
	v_sub_u16_e32 v11, v56, v11
	v_sub_u16_e32 v75, v61, v24
	v_mul_lo_u16_e32 v24, 34, v76
	v_lshlrev_b32_sdwa v13, v15, v11 dst_sel:DWORD dst_unused:UNUSED_PAD src0_sel:DWORD src1_sel:BYTE_0
	v_sub_u16_e32 v77, v66, v24
	s_waitcnt lgkmcnt(0)
	s_barrier
	v_lshlrev_b32_sdwa v15, v15, v73 dst_sel:DWORD dst_unused:UNUSED_PAD src0_sel:DWORD src1_sel:BYTE_0
	v_lshlrev_b32_e32 v32, 3, v75
	v_lshlrev_b32_e32 v33, 3, v77
	global_load_dwordx2 v[30:31], v13, s[8:9] offset:136
	global_load_dwordx2 v[28:29], v15, s[8:9] offset:136
	;; [unrolled: 1-line block ×4, first 2 shown]
	v_lshrrev_b32_e32 v13, 21, v17
	v_mul_lo_u16_e32 v15, 34, v13
	v_lshrrev_b32_e32 v78, 21, v84
	v_lshrrev_b32_e32 v80, 21, v87
	v_sub_u16_e32 v15, v60, v15
	v_mul_lo_u16_e32 v32, 34, v78
	v_mul_lo_u16_e32 v33, 34, v80
	v_lshlrev_b32_e32 v17, 3, v15
	v_sub_u16_e32 v79, v65, v32
	v_sub_u16_e32 v81, v62, v33
	v_lshlrev_b32_e32 v32, 3, v79
	v_lshlrev_b32_e32 v33, 3, v81
	v_lshrrev_b32_e32 v82, 21, v90
	global_load_dwordx2 v[40:41], v17, s[8:9] offset:136
	global_load_dwordx2 v[42:43], v32, s[8:9] offset:136
	;; [unrolled: 1-line block ×3, first 2 shown]
	v_mul_lo_u16_e32 v17, 34, v82
	v_sub_u16_e32 v17, v83, v17
	v_lshlrev_b32_e32 v32, 3, v17
	global_load_dwordx2 v[46:47], v32, s[8:9] offset:136
	ds_read2_b32 v[38:39], v59 offset1:102
	ds_read2_b32 v[54:55], v14 offset0:48 offset1:150
	ds_read2_b32 v[36:37], v10 offset0:76 offset1:178
	ds_read2_b32 v[52:53], v8 offset0:124 offset1:226
	ds_read2_b32 v[34:35], v12 offset0:152 offset1:254
	ds_read2_b32 v[50:51], v18 offset0:72 offset1:174
	ds_read2_b32 v[32:33], v16 offset0:100 offset1:202
	ds_read2_b32 v[48:49], v64 offset0:148 offset1:250
	v_mul_u32_u24_e32 v9, 0x110, v9
	v_lshlrev_b32_sdwa v11, v93, v11 dst_sel:DWORD dst_unused:UNUSED_PAD src0_sel:DWORD src1_sel:BYTE_0
	s_waitcnt vmcnt(0) lgkmcnt(0)
	s_barrier
	v_mul_f32_e32 v8, v54, v31
	v_fmac_f32_e32 v8, v22, v30
	v_sub_f32_e32 v8, v19, v8
	v_mul_f32_e32 v18, v52, v27
	v_fma_f32 v19, v19, 2.0, -v8
	v_fmac_f32_e32 v18, v6, v26
	v_sub_f32_e32 v18, v67, v18
	v_fma_f32 v88, v67, 2.0, -v18
	v_mul_f32_e32 v12, v55, v29
	v_mul_f32_e32 v83, v53, v25
	v_fmac_f32_e32 v12, v23, v28
	v_fmac_f32_e32 v83, v7, v24
	v_sub_f32_e32 v12, v20, v12
	v_sub_f32_e32 v83, v68, v83
	v_fma_f32 v20, v20, 2.0, -v12
	v_fma_f32 v68, v68, 2.0, -v83
	v_mul_f32_e32 v84, v50, v41
	v_fmac_f32_e32 v84, v4, v40
	v_mul_f32_e32 v85, v51, v43
	v_sub_f32_e32 v84, v69, v84
	v_fmac_f32_e32 v85, v5, v42
	v_mul_f32_e32 v86, v48, v45
	v_fma_f32 v89, v69, 2.0, -v84
	v_add3_u32 v69, 0, v9, v11
	v_fmac_f32_e32 v86, v2, v44
	v_mul_f32_e32 v87, v49, v47
	v_sub_f32_e32 v85, v70, v85
	ds_write2_b32 v69, v19, v8 offset1:34
	v_mul_u32_u24_e32 v8, 0x110, v21
	v_lshlrev_b32_sdwa v9, v93, v73 dst_sel:DWORD dst_unused:UNUSED_PAD src0_sel:DWORD src1_sel:BYTE_0
	v_fmac_f32_e32 v87, v3, v46
	v_fma_f32 v90, v70, 2.0, -v85
	v_sub_f32_e32 v86, v71, v86
	v_add3_u32 v70, 0, v8, v9
	v_mul_u32_u24_e32 v8, 0x110, v74
	v_lshlrev_b32_e32 v9, 2, v75
	v_fma_f32 v91, v71, 2.0, -v86
	v_sub_f32_e32 v67, v72, v87
	v_add3_u32 v71, 0, v8, v9
	v_mul_u32_u24_e32 v8, 0x110, v76
	v_lshlrev_b32_e32 v9, 2, v77
	v_fma_f32 v87, v72, 2.0, -v67
	v_add3_u32 v72, 0, v8, v9
	v_mul_u32_u24_e32 v8, 0x110, v13
	v_lshlrev_b32_e32 v9, 2, v15
	v_add3_u32 v73, 0, v8, v9
	v_mul_u32_u24_e32 v8, 0x110, v78
	v_lshlrev_b32_e32 v9, 2, v79
	;; [unrolled: 3-line block ×4, first 2 shown]
	v_add3_u32 v76, 0, v8, v9
	v_add_u32_e32 v77, 0x600, v59
	v_add_u32_e32 v78, 0x1000, v59
	ds_write2_b32 v70, v20, v12 offset1:34
	ds_write2_b32 v71, v88, v18 offset1:34
	;; [unrolled: 1-line block ×7, first 2 shown]
	s_waitcnt lgkmcnt(0)
	s_barrier
	ds_read2_b32 v[12:13], v59 offset1:102
	ds_read2_b32 v[8:9], v77 offset0:24 offset1:160
	ds_read2_b32 v[20:21], v78 offset0:64 offset1:166
	;; [unrolled: 1-line block ×6, first 2 shown]
	ds_read_b32 v68, v59 offset:5984
                                        ; implicit-def: $vgpr64
	s_and_saveexec_b64 s[2:3], s[0:1]
	s_cbranch_execz .LBB0_17
; %bb.16:
	ds_read_b32 v67, v59 offset:2040
	ds_read_b32 v57, v59 offset:4216
	;; [unrolled: 1-line block ×3, first 2 shown]
.LBB0_17:
	s_or_b64 exec, exec, s[2:3]
	v_mul_f32_e32 v22, v22, v31
	v_fma_f32 v22, v54, v30, -v22
	v_mul_f32_e32 v23, v23, v29
	v_mul_f32_e32 v6, v6, v27
	;; [unrolled: 1-line block ×7, first 2 shown]
	v_fma_f32 v23, v55, v28, -v23
	v_fma_f32 v6, v52, v26, -v6
	;; [unrolled: 1-line block ×7, first 2 shown]
	v_sub_f32_e32 v22, v38, v22
	v_fma_f32 v24, v38, 2.0, -v22
	v_sub_f32_e32 v23, v39, v23
	v_sub_f32_e32 v6, v36, v6
	v_sub_f32_e32 v7, v37, v7
	v_sub_f32_e32 v4, v34, v4
	v_sub_f32_e32 v5, v35, v5
	v_sub_f32_e32 v2, v32, v2
	v_sub_f32_e32 v30, v33, v3
	v_fma_f32 v25, v39, 2.0, -v23
	v_fma_f32 v26, v36, 2.0, -v6
	;; [unrolled: 1-line block ×7, first 2 shown]
	s_waitcnt lgkmcnt(0)
	s_barrier
	ds_write2_b32 v69, v24, v22 offset1:34
	ds_write2_b32 v70, v25, v23 offset1:34
	ds_write2_b32 v71, v26, v6 offset1:34
	ds_write2_b32 v72, v27, v7 offset1:34
	ds_write2_b32 v73, v28, v4 offset1:34
	ds_write2_b32 v74, v29, v5 offset1:34
	ds_write2_b32 v75, v31, v2 offset1:34
	ds_write2_b32 v76, v3, v30 offset1:34
	v_add_u32_e32 v6, 0x800, v59
	v_add_u32_e32 v22, 0x1400, v59
	s_waitcnt lgkmcnt(0)
	s_barrier
	ds_read2_b32 v[4:5], v59 offset1:102
	ds_read2_b32 v[2:3], v77 offset0:24 offset1:160
	ds_read2_b32 v[28:29], v78 offset0:64 offset1:166
	;; [unrolled: 1-line block ×3, first 2 shown]
	v_add_u32_e32 v6, 0x200, v59
	ds_read2_b32 v[24:25], v22 offset0:12 offset1:114
	v_add_u32_e32 v22, 0xc00, v59
	ds_read2_b32 v[6:7], v6 offset0:76 offset1:178
	ds_read2_b32 v[22:23], v22 offset0:82 offset1:184
	ds_read_b32 v37, v59 offset:5984
                                        ; implicit-def: $vgpr35
	s_and_saveexec_b64 s[2:3], s[0:1]
	s_cbranch_execz .LBB0_19
; %bb.18:
	ds_read_b32 v30, v59 offset:2040
	ds_read_b32 v63, v59 offset:4216
	;; [unrolled: 1-line block ×3, first 2 shown]
.LBB0_19:
	s_or_b64 exec, exec, s[2:3]
	s_movk_i32 s2, 0x44
	v_add_u32_e32 v31, 0xffffffbc, v56
	v_cmp_gt_u32_e64 s[2:3], s2, v56
	v_cndmask_b32_e64 v81, v31, v56, s[2:3]
	v_lshlrev_b32_e32 v31, 1, v81
	v_mov_b32_e32 v32, 0
	v_lshlrev_b64 v[31:32], 3, v[31:32]
	v_mov_b32_e32 v33, s9
	v_add_co_u32_e64 v31, s[2:3], s8, v31
	v_addc_co_u32_e64 v32, s[2:3], v33, v32, s[2:3]
	s_movk_i32 s2, 0x79
	v_mul_lo_u16_sdwa v33, v58, s2 dst_sel:DWORD dst_unused:UNUSED_PAD src0_sel:BYTE_0 src1_sel:DWORD
	v_lshrrev_b16_e32 v82, 13, v33
	v_mul_lo_u16_e32 v33, 0x44, v82
	v_sub_u16_e32 v83, v58, v33
	v_mov_b32_e32 v33, 4
	s_mov_b32 s2, 0xf0f1
	v_lshlrev_b32_sdwa v33, v33, v83 dst_sel:DWORD dst_unused:UNUSED_PAD src0_sel:DWORD src1_sel:BYTE_0
	global_load_dwordx4 v[44:47], v[31:32], off offset:408
	global_load_dwordx4 v[48:51], v33, s[8:9] offset:408
	v_mul_u32_u24_sdwa v31, v61, s2 dst_sel:DWORD dst_unused:UNUSED_PAD src0_sel:WORD_0 src1_sel:DWORD
	v_lshrrev_b32_e32 v84, 22, v31
	v_mul_u32_u24_sdwa v32, v66, s2 dst_sel:DWORD dst_unused:UNUSED_PAD src0_sel:WORD_0 src1_sel:DWORD
	v_mul_lo_u16_e32 v31, 0x44, v84
	v_lshrrev_b32_e32 v86, 22, v32
	v_sub_u16_e32 v85, v61, v31
	v_mul_lo_u16_e32 v32, 0x44, v86
	v_lshlrev_b32_e32 v31, 4, v85
	v_sub_u16_e32 v66, v66, v32
	v_lshlrev_b32_e32 v32, 4, v66
	global_load_dwordx4 v[52:55], v31, s[8:9] offset:408
	global_load_dwordx4 v[69:72], v32, s[8:9] offset:408
	v_mul_u32_u24_sdwa v31, v60, s2 dst_sel:DWORD dst_unused:UNUSED_PAD src0_sel:WORD_0 src1_sel:DWORD
	v_lshrrev_b32_e32 v87, 22, v31
	v_mul_lo_u16_e32 v31, 0x44, v87
	v_sub_u16_e32 v88, v60, v31
	v_mul_u32_u24_sdwa v32, v65, s2 dst_sel:DWORD dst_unused:UNUSED_PAD src0_sel:WORD_0 src1_sel:DWORD
	v_lshlrev_b32_e32 v31, 4, v88
	v_lshrrev_b32_e32 v32, 22, v32
	global_load_dwordx4 v[73:76], v31, s[8:9] offset:408
	v_mul_lo_u16_e32 v31, 0x44, v32
	v_sub_u16_e32 v65, v65, v31
	v_lshlrev_b32_e32 v31, 4, v65
	global_load_dwordx4 v[77:80], v31, s[8:9] offset:408
	s_movk_i32 s2, 0x43
	v_cmp_lt_u32_e64 s[2:3], s2, v56
	s_waitcnt vmcnt(0) lgkmcnt(0)
	s_barrier
	v_mul_f32_e32 v42, v3, v45
	v_mul_f32_e32 v43, v28, v47
	;; [unrolled: 1-line block ×3, first 2 shown]
	v_fmac_f32_e32 v42, v9, v44
	v_fmac_f32_e32 v43, v20, v46
	v_mul_f32_e32 v47, v20, v47
	v_mul_f32_e32 v40, v26, v49
	;; [unrolled: 1-line block ×3, first 2 shown]
	v_fma_f32 v44, v3, v44, -v45
	v_mul_f32_e32 v49, v18, v49
	v_fma_f32 v28, v28, v46, -v47
	v_mul_f32_e32 v38, v27, v53
	v_mul_f32_e32 v36, v25, v72
	;; [unrolled: 1-line block ×5, first 2 shown]
	v_fmac_f32_e32 v36, v17, v71
	v_add_f32_e32 v17, v42, v43
	v_mul_f32_e32 v53, v19, v53
	v_fmac_f32_e32 v40, v18, v48
	v_mul_f32_e32 v32, v23, v74
	v_mul_f32_e32 v74, v15, v74
	v_fmac_f32_e32 v32, v15, v73
	v_fma_f32 v3, v23, v73, -v74
	v_mul_f32_e32 v15, v57, v78
	v_fma_f32 v23, v63, v77, -v15
	v_mul_f32_e32 v15, v64, v80
	v_fmac_f32_e32 v41, v21, v50
	v_fmac_f32_e32 v38, v19, v52
	v_fma_f32 v19, v24, v54, -v55
	v_fma_f32 v24, v35, v79, -v15
	v_add_f32_e32 v15, v12, v42
	v_fma_f32 v12, -0.5, v17, v12
	v_mul_f32_e32 v51, v21, v51
	v_fma_f32 v20, v26, v48, -v49
	v_fmac_f32_e32 v39, v16, v54
	v_fma_f32 v16, v25, v71, -v72
	v_sub_f32_e32 v17, v44, v28
	v_mov_b32_e32 v25, v12
	v_add_f32_e32 v26, v40, v41
	v_fma_f32 v21, v29, v50, -v51
	v_fmac_f32_e32 v25, 0xbf5db3d7, v17
	v_fmac_f32_e32 v12, 0x3f5db3d7, v17
	v_add_f32_e32 v17, v13, v40
	v_fmac_f32_e32 v13, -0.5, v26
	v_sub_f32_e32 v26, v20, v21
	v_mov_b32_e32 v29, v13
	v_mul_f32_e32 v34, v22, v70
	v_mul_f32_e32 v70, v14, v70
	v_fmac_f32_e32 v29, 0xbf5db3d7, v26
	v_fmac_f32_e32 v13, 0x3f5db3d7, v26
	v_add_f32_e32 v26, v10, v38
	v_fmac_f32_e32 v34, v14, v69
	v_fma_f32 v14, v22, v69, -v70
	v_mul_f32_e32 v22, v35, v80
	v_add_f32_e32 v35, v26, v39
	v_add_f32_e32 v26, v38, v39
	v_mul_f32_e32 v33, v37, v76
	v_mul_f32_e32 v76, v68, v76
	v_fma_f32 v18, v27, v52, -v53
	v_fma_f32 v10, -0.5, v26, v10
	v_fma_f32 v9, v37, v75, -v76
	v_sub_f32_e32 v26, v18, v19
	v_mov_b32_e32 v37, v10
	v_fmac_f32_e32 v37, 0xbf5db3d7, v26
	v_fmac_f32_e32 v10, 0x3f5db3d7, v26
	v_add_f32_e32 v26, v11, v34
	v_add_f32_e32 v45, v26, v36
	;; [unrolled: 1-line block ×3, first 2 shown]
	v_fmac_f32_e32 v11, -0.5, v26
	v_sub_f32_e32 v26, v14, v16
	v_mov_b32_e32 v46, v11
	v_fmac_f32_e32 v33, v68, v75
	v_fmac_f32_e32 v46, 0xbf5db3d7, v26
	;; [unrolled: 1-line block ×3, first 2 shown]
	v_add_f32_e32 v26, v8, v32
	v_add_f32_e32 v47, v26, v33
	;; [unrolled: 1-line block ×3, first 2 shown]
	v_fmac_f32_e32 v8, -0.5, v26
	v_sub_f32_e32 v26, v3, v9
	v_mov_b32_e32 v48, v8
	v_fmac_f32_e32 v48, 0xbf5db3d7, v26
	v_fmac_f32_e32 v8, 0x3f5db3d7, v26
	v_mov_b32_e32 v26, 0x330
	v_cndmask_b32_e64 v26, 0, v26, s[2:3]
	v_lshlrev_b32_e32 v27, 2, v81
	v_add_f32_e32 v15, v15, v43
	v_add3_u32 v26, 0, v26, v27
	ds_write2_b32 v26, v15, v25 offset1:68
	ds_write_b32 v26, v12 offset:544
	v_mov_b32_e32 v15, 2
	v_mul_u32_u24_e32 v12, 0x330, v82
	v_lshlrev_b32_sdwa v15, v15, v83 dst_sel:DWORD dst_unused:UNUSED_PAD src0_sel:DWORD src1_sel:BYTE_0
	v_add_f32_e32 v17, v17, v41
	v_add3_u32 v27, 0, v12, v15
	ds_write2_b32 v27, v17, v29 offset1:68
	ds_write_b32 v27, v13 offset:544
	v_mul_u32_u24_e32 v12, 0x330, v84
	v_lshlrev_b32_e32 v13, 2, v85
	v_add3_u32 v29, 0, v12, v13
	ds_write2_b32 v29, v35, v37 offset1:68
	ds_write_b32 v29, v10 offset:544
	v_mul_u32_u24_e32 v10, 0x330, v86
	v_lshlrev_b32_e32 v12, 2, v66
	v_add3_u32 v35, 0, v10, v12
	v_mul_f32_e32 v31, v63, v78
	ds_write2_b32 v35, v45, v46 offset1:68
	ds_write_b32 v35, v11 offset:544
	v_mul_u32_u24_e32 v10, 0x330, v87
	v_lshlrev_b32_e32 v11, 2, v88
	v_fmac_f32_e32 v31, v57, v77
	v_fmac_f32_e32 v22, v64, v79
	v_add3_u32 v37, 0, v10, v11
	v_lshl_add_u32 v25, v65, 2, 0
	ds_write2_b32 v37, v47, v48 offset1:68
	ds_write_b32 v37, v8 offset:544
	s_and_saveexec_b64 s[2:3], s[0:1]
	s_cbranch_execz .LBB0_21
; %bb.20:
	v_add_f32_e32 v8, v31, v22
	v_fma_f32 v8, -0.5, v8, v67
	v_sub_f32_e32 v10, v23, v24
	v_mov_b32_e32 v11, v8
	v_fmac_f32_e32 v11, 0x3f5db3d7, v10
	v_fmac_f32_e32 v8, 0xbf5db3d7, v10
	v_add_f32_e32 v10, v67, v31
	v_add_f32_e32 v10, v10, v22
	v_add_u32_e32 v12, 0x1400, v25
	ds_write2_b32 v12, v10, v8 offset0:148 offset1:216
	ds_write_b32 v25, v11 offset:6256
.LBB0_21:
	s_or_b64 exec, exec, s[2:3]
	v_add_f32_e32 v8, v4, v44
	v_add_f32_e32 v45, v8, v28
	v_add_f32_e32 v8, v44, v28
	v_fma_f32 v28, -0.5, v8, v4
	v_sub_f32_e32 v4, v42, v43
	v_mov_b32_e32 v42, v28
	v_fmac_f32_e32 v42, 0x3f5db3d7, v4
	v_fmac_f32_e32 v28, 0xbf5db3d7, v4
	v_add_f32_e32 v4, v5, v20
	v_add_f32_e32 v43, v4, v21
	;; [unrolled: 1-line block ×3, first 2 shown]
	v_fmac_f32_e32 v5, -0.5, v4
	v_sub_f32_e32 v4, v40, v41
	v_mov_b32_e32 v40, v5
	v_fmac_f32_e32 v40, 0x3f5db3d7, v4
	v_fmac_f32_e32 v5, 0xbf5db3d7, v4
	v_add_f32_e32 v4, v6, v18
	v_add_f32_e32 v41, v4, v19
	;; [unrolled: 1-line block ×3, first 2 shown]
	v_fma_f32 v6, -0.5, v4, v6
	v_sub_f32_e32 v4, v38, v39
	v_mov_b32_e32 v38, v6
	v_fmac_f32_e32 v38, 0x3f5db3d7, v4
	v_fmac_f32_e32 v6, 0xbf5db3d7, v4
	v_add_f32_e32 v4, v7, v14
	v_add_f32_e32 v39, v4, v16
	;; [unrolled: 1-line block ×3, first 2 shown]
	v_fmac_f32_e32 v7, -0.5, v4
	v_sub_f32_e32 v4, v34, v36
	v_mov_b32_e32 v34, v7
	v_add_u32_e32 v8, 0x200, v59
	v_fmac_f32_e32 v34, 0x3f5db3d7, v4
	v_fmac_f32_e32 v7, 0xbf5db3d7, v4
	v_add_f32_e32 v4, v2, v3
	v_add_f32_e32 v3, v3, v9
	s_waitcnt lgkmcnt(0)
	s_barrier
	ds_read2_b32 v[14:15], v8 offset0:76 offset1:178
	v_add_u32_e32 v8, 0x400, v59
	v_fmac_f32_e32 v2, -0.5, v3
	ds_read2_b32 v[10:11], v8 offset0:152 offset1:254
	v_add_u32_e32 v8, 0x800, v59
	v_add_u32_e32 v12, 0xe00, v59
	v_sub_f32_e32 v3, v32, v33
	v_mov_b32_e32 v32, v2
	ds_read2_b32 v[18:19], v8 offset0:100 offset1:202
	v_add_u32_e32 v8, 0xc00, v59
	ds_read2_b32 v[16:17], v12 offset0:124 offset1:226
	v_add_u32_e32 v12, 0x1200, v59
	v_add_u32_e32 v20, 0x1400, v59
	v_add_f32_e32 v36, v4, v9
	v_fmac_f32_e32 v32, 0x3f5db3d7, v3
	v_fmac_f32_e32 v2, 0xbf5db3d7, v3
	ds_read2_b32 v[3:4], v59 offset1:102
	ds_read2_b32 v[8:9], v8 offset0:48 offset1:150
	ds_read2_b32 v[12:13], v12 offset0:72 offset1:174
	;; [unrolled: 1-line block ×3, first 2 shown]
	s_waitcnt lgkmcnt(0)
	s_barrier
	ds_write2_b32 v26, v45, v42 offset1:68
	ds_write_b32 v26, v28 offset:544
	ds_write2_b32 v27, v43, v40 offset1:68
	ds_write_b32 v27, v5 offset:544
	;; [unrolled: 2-line block ×5, first 2 shown]
	s_and_saveexec_b64 s[2:3], s[0:1]
	s_cbranch_execz .LBB0_23
; %bb.22:
	v_add_f32_e32 v5, v23, v24
	v_add_f32_e32 v2, v30, v23
	v_fmac_f32_e32 v30, -0.5, v5
	v_sub_f32_e32 v5, v31, v22
	v_mov_b32_e32 v6, v30
	v_add_f32_e32 v2, v2, v24
	v_fmac_f32_e32 v6, 0x3f5db3d7, v5
	v_fmac_f32_e32 v30, 0xbf5db3d7, v5
	v_add_u32_e32 v5, 0x1400, v25
	ds_write2_b32 v5, v2, v6 offset0:148 offset1:216
	ds_write_b32 v25, v30 offset:6256
.LBB0_23:
	s_or_b64 exec, exec, s[2:3]
	s_waitcnt lgkmcnt(0)
	s_barrier
	s_and_saveexec_b64 s[0:1], vcc
	s_cbranch_execz .LBB0_25
; %bb.24:
	v_mul_u32_u24_e32 v2, 7, v58
	v_lshlrev_b32_e32 v2, 3, v2
	global_load_dwordx4 v[22:25], v2, s[8:9] offset:1512
	global_load_dwordx4 v[26:29], v2, s[8:9] offset:1496
	;; [unrolled: 1-line block ×3, first 2 shown]
	global_load_dwordx2 v[5:6], v2, s[8:9] offset:1544
	v_add_u32_e32 v2, 0xc00, v59
	v_mul_u32_u24_e32 v39, 7, v56
	ds_read2_b32 v[46:47], v59 offset1:102
	v_add_u32_e32 v7, 0x400, v59
	v_add_u32_e32 v34, 0x1200, v59
	;; [unrolled: 1-line block ×6, first 2 shown]
	ds_read2_b32 v[48:49], v2 offset0:48 offset1:150
	ds_read2_b32 v[50:51], v7 offset0:152 offset1:254
	;; [unrolled: 1-line block ×7, first 2 shown]
	v_lshlrev_b32_e32 v2, 3, v39
	global_load_dwordx2 v[69:70], v2, s[8:9] offset:1544
	global_load_dwordx4 v[34:37], v2, s[8:9] offset:1528
	global_load_dwordx4 v[38:41], v2, s[8:9] offset:1512
	;; [unrolled: 1-line block ×3, first 2 shown]
	s_waitcnt vmcnt(7)
	v_mul_f32_e32 v2, v9, v25
	s_waitcnt vmcnt(6)
	v_mul_f32_e32 v7, v11, v28
	;; [unrolled: 2-line block ×3, first 2 shown]
	v_mul_f32_e32 v59, v15, v27
	v_mul_f32_e32 v71, v17, v31
	;; [unrolled: 1-line block ×3, first 2 shown]
	s_waitcnt vmcnt(4)
	v_mul_f32_e32 v73, v21, v5
	v_mul_f32_e32 v19, v19, v23
	;; [unrolled: 1-line block ×3, first 2 shown]
	s_waitcnt lgkmcnt(3)
	v_mul_f32_e32 v27, v55, v27
	s_waitcnt lgkmcnt(2)
	v_mul_f32_e32 v31, v64, v31
	v_mul_f32_e32 v25, v49, v25
	v_fma_f32 v2, v49, v24, -v2
	v_fmac_f32_e32 v7, v51, v29
	v_fmac_f32_e32 v57, v53, v33
	v_mul_f32_e32 v11, v11, v29
	v_mul_f32_e32 v13, v13, v33
	v_fma_f32 v29, v55, v26, -v59
	v_fma_f32 v33, v64, v30, -v71
	s_waitcnt lgkmcnt(1)
	v_fmac_f32_e32 v72, v66, v23
	s_waitcnt lgkmcnt(0)
	v_fmac_f32_e32 v73, v68, v6
	v_fma_f32 v6, v66, v22, -v19
	v_fma_f32 v5, v68, v5, -v21
	v_fmac_f32_e32 v27, v15, v26
	v_fmac_f32_e32 v31, v17, v30
	v_fmac_f32_e32 v25, v9, v24
	v_sub_f32_e32 v2, v47, v2
	v_sub_f32_e32 v9, v7, v57
	v_sub_f32_e32 v15, v29, v33
	v_sub_f32_e32 v17, v72, v73
	v_sub_f32_e32 v5, v6, v5
	v_sub_f32_e32 v19, v27, v31
	v_sub_f32_e32 v26, v2, v9
	v_fma_f32 v11, v51, v28, -v11
	v_sub_f32_e32 v28, v15, v17
	v_add_f32_e32 v30, v19, v5
	v_fma_f32 v6, v6, 2.0, -v5
	v_mov_b32_e32 v5, v26
	v_fma_f32 v13, v53, v32, -v13
	v_fmac_f32_e32 v5, 0x3f3504f3, v28
	v_sub_f32_e32 v13, v11, v13
	v_sub_f32_e32 v25, v4, v25
	v_fma_f32 v32, v47, 2.0, -v2
	v_fmac_f32_e32 v5, 0xbf3504f3, v30
	v_fma_f32 v2, v2, 2.0, -v26
	v_add_f32_e32 v31, v25, v13
	v_fma_f32 v7, v7, 2.0, -v9
	v_fma_f32 v9, v29, 2.0, -v15
	;; [unrolled: 1-line block ×4, first 2 shown]
	v_mov_b32_e32 v26, v2
	v_fma_f32 v11, v11, 2.0, -v13
	v_fma_f32 v13, v27, 2.0, -v19
	v_fma_f32 v33, v4, 2.0, -v25
	v_mov_b32_e32 v4, v31
	v_fmac_f32_e32 v26, 0xbf3504f3, v15
	v_fma_f32 v19, v19, 2.0, -v30
	v_fmac_f32_e32 v4, 0x3f3504f3, v30
	v_fmac_f32_e32 v26, 0xbf3504f3, v19
	v_fmac_f32_e32 v4, 0x3f3504f3, v28
	v_fma_f32 v28, v2, 2.0, -v26
	v_fma_f32 v2, v25, 2.0, -v31
	v_mov_b32_e32 v25, v2
	v_fmac_f32_e32 v25, 0xbf3504f3, v19
	v_sub_f32_e32 v11, v32, v11
	v_sub_f32_e32 v47, v9, v6
	v_fmac_f32_e32 v25, 0x3f3504f3, v15
	v_fma_f32 v17, v72, 2.0, -v17
	v_fma_f32 v27, v2, 2.0, -v25
	;; [unrolled: 1-line block ×4, first 2 shown]
	v_sub_f32_e32 v17, v13, v17
	v_sub_f32_e32 v29, v33, v7
	;; [unrolled: 1-line block ×4, first 2 shown]
	v_add_f32_e32 v6, v29, v47
	v_fma_f32 v32, v2, 2.0, -v30
	v_fma_f32 v2, v33, 2.0, -v29
	;; [unrolled: 1-line block ×5, first 2 shown]
	v_sub_f32_e32 v29, v2, v9
	s_waitcnt vmcnt(0)
	v_mul_f32_e32 v17, v10, v44
	v_mul_f32_e32 v9, v12, v36
	;; [unrolled: 1-line block ×3, first 2 shown]
	v_fmac_f32_e32 v17, v50, v45
	v_fmac_f32_e32 v9, v52, v37
	v_mul_f32_e32 v13, v18, v38
	v_fma_f32 v18, v65, v38, -v11
	v_mul_f32_e32 v38, v54, v43
	v_mul_f32_e32 v10, v10, v45
	v_sub_f32_e32 v19, v17, v9
	v_mul_f32_e32 v9, v14, v43
	v_fmac_f32_e32 v38, v14, v42
	v_fma_f32 v14, v50, v44, -v10
	v_mul_f32_e32 v10, v12, v37
	v_fma_f32 v47, v54, v42, -v9
	v_mul_f32_e32 v9, v16, v35
	v_fma_f32 v10, v52, v36, -v10
	v_fma_f32 v23, v31, 2.0, -v4
	v_fma_f32 v31, v2, 2.0, -v29
	v_mul_f32_e32 v2, v8, v41
	v_fma_f32 v9, v63, v34, -v9
	v_mul_f32_e32 v11, v20, v70
	v_sub_f32_e32 v12, v14, v10
	v_mul_f32_e32 v10, v48, v41
	v_fma_f32 v2, v48, v40, -v2
	v_sub_f32_e32 v49, v47, v9
	v_mul_f32_e32 v9, v20, v69
	v_fma_f32 v11, v67, v69, -v11
	v_fmac_f32_e32 v10, v8, v40
	v_sub_f32_e32 v2, v46, v2
	v_fmac_f32_e32 v13, v65, v39
	v_fmac_f32_e32 v9, v67, v70
	v_sub_f32_e32 v20, v18, v11
	v_mul_f32_e32 v11, v63, v35
	v_sub_f32_e32 v35, v3, v10
	v_sub_f32_e32 v33, v2, v19
	;; [unrolled: 1-line block ×3, first 2 shown]
	v_fmac_f32_e32 v11, v16, v34
	v_fma_f32 v41, v3, 2.0, -v35
	v_fma_f32 v3, v17, 2.0, -v19
	v_sub_f32_e32 v51, v49, v15
	v_mov_b32_e32 v9, v33
	v_sub_f32_e32 v16, v38, v11
	v_fma_f32 v37, v46, 2.0, -v2
	v_sub_f32_e32 v42, v41, v3
	v_fma_f32 v19, v47, 2.0, -v49
	v_fma_f32 v3, v18, 2.0, -v20
	;; [unrolled: 1-line block ×3, first 2 shown]
	v_fmac_f32_e32 v9, 0x3f3504f3, v51
	v_add_f32_e32 v34, v16, v20
	v_sub_f32_e32 v18, v19, v3
	v_fma_f32 v20, v49, 2.0, -v51
	v_mov_b32_e32 v3, v2
	v_fmac_f32_e32 v9, 0xbf3504f3, v34
	v_add_f32_e32 v36, v35, v12
	v_fma_f32 v38, v38, 2.0, -v16
	v_fmac_f32_e32 v3, 0xbf3504f3, v20
	v_fma_f32 v16, v16, 2.0, -v34
	v_fma_f32 v11, v33, 2.0, -v9
	v_fmac_f32_e32 v3, 0xbf3504f3, v16
	v_fma_f32 v33, v35, 2.0, -v36
	v_fma_f32 v17, v2, 2.0, -v3
	v_mov_b32_e32 v2, v33
	v_fma_f32 v12, v14, 2.0, -v12
	v_fmac_f32_e32 v2, 0xbf3504f3, v16
	v_sub_f32_e32 v39, v37, v12
	v_fma_f32 v12, v13, 2.0, -v15
	v_fmac_f32_e32 v2, 0x3f3504f3, v20
	v_sub_f32_e32 v40, v38, v12
	v_add_f32_e32 v12, v42, v18
	v_fma_f32 v16, v33, 2.0, -v2
	v_fma_f32 v33, v19, 2.0, -v18
	v_mad_u64_u32 v[18:19], s[0:1], s12, v56, 0
	v_mov_b32_e32 v8, v36
	v_fmac_f32_e32 v8, 0x3f3504f3, v34
	v_fma_f32 v20, v37, 2.0, -v39
	v_fmac_f32_e32 v8, 0x3f3504f3, v51
	v_sub_f32_e32 v34, v20, v33
	v_fma_f32 v10, v36, 2.0, -v8
	v_fma_f32 v36, v20, 2.0, -v34
	v_mad_u64_u32 v[19:20], s[0:1], s13, v56, v[19:20]
	v_sub_f32_e32 v13, v39, v40
	v_fma_f32 v35, v41, 2.0, -v42
	v_fma_f32 v20, v38, 2.0, -v40
	;; [unrolled: 1-line block ×3, first 2 shown]
	v_sub_f32_e32 v33, v35, v20
	v_mov_b32_e32 v20, s15
	v_add_co_u32_e32 v39, vcc, s14, v0
	v_addc_co_u32_e32 v40, vcc, v20, v1, vcc
	v_lshlrev_b64 v[0:1], 3, v[18:19]
	v_mad_u64_u32 v[18:19], s[0:1], s12, v61, 0
	v_add_co_u32_e32 v0, vcc, v39, v0
	v_mad_u64_u32 v[19:20], s[0:1], s13, v61, v[19:20]
	v_fma_f32 v35, v35, 2.0, -v33
	v_addc_co_u32_e32 v1, vcc, v40, v1, vcc
	v_mad_u64_u32 v[37:38], s[0:1], s12, v60, 0
	global_store_dwordx2 v[0:1], v[35:36], off
	v_lshlrev_b64 v[0:1], 3, v[18:19]
	v_mov_b32_e32 v18, v38
	v_add_co_u32_e32 v0, vcc, v39, v0
	v_addc_co_u32_e32 v1, vcc, v40, v1, vcc
	v_mad_u64_u32 v[18:19], s[0:1], s13, v60, v[18:19]
	global_store_dwordx2 v[0:1], v[16:17], off
	v_mad_u64_u32 v[16:17], s[0:1], s12, v62, 0
	v_mov_b32_e32 v38, v18
	v_add_u32_e32 v20, 0x330, v56
	v_mad_u64_u32 v[17:18], s[0:1], s13, v62, v[17:18]
	v_lshlrev_b64 v[0:1], 3, v[37:38]
	v_mad_u64_u32 v[18:19], s[0:1], s12, v20, 0
	v_add_co_u32_e32 v0, vcc, v39, v0
	v_fma_f32 v14, v42, 2.0, -v12
	v_addc_co_u32_e32 v1, vcc, v40, v1, vcc
	global_store_dwordx2 v[0:1], v[14:15], off
	v_mov_b32_e32 v14, v19
	v_mad_u64_u32 v[14:15], s[0:1], s13, v20, v[14:15]
	v_lshlrev_b64 v[0:1], 3, v[16:17]
	v_add_u32_e32 v17, 0x4c8, v56
	v_add_co_u32_e32 v0, vcc, v39, v0
	v_addc_co_u32_e32 v1, vcc, v40, v1, vcc
	v_mov_b32_e32 v19, v14
	v_add_u32_e32 v14, 0x3fc, v56
	global_store_dwordx2 v[0:1], v[10:11], off
	v_mad_u64_u32 v[10:11], s[0:1], s12, v14, 0
	v_lshlrev_b64 v[0:1], 3, v[18:19]
	v_mad_u64_u32 v[14:15], s[0:1], s13, v14, v[11:12]
	v_mad_u64_u32 v[15:16], s[0:1], s12, v17, 0
	v_add_co_u32_e32 v0, vcc, v39, v0
	v_addc_co_u32_e32 v1, vcc, v40, v1, vcc
	v_mov_b32_e32 v11, v14
	global_store_dwordx2 v[0:1], v[33:34], off
	v_lshlrev_b64 v[0:1], 3, v[10:11]
	v_mov_b32_e32 v10, v16
	v_mad_u64_u32 v[10:11], s[0:1], s13, v17, v[10:11]
	v_add_co_u32_e32 v0, vcc, v39, v0
	v_addc_co_u32_e32 v1, vcc, v40, v1, vcc
	v_mov_b32_e32 v16, v10
	v_add_u32_e32 v10, 0x594, v56
	global_store_dwordx2 v[0:1], v[2:3], off
	v_lshlrev_b64 v[0:1], 3, v[15:16]
	v_mad_u64_u32 v[2:3], s[0:1], s12, v10, 0
	v_add_co_u32_e32 v0, vcc, v39, v0
	v_addc_co_u32_e32 v1, vcc, v40, v1, vcc
	global_store_dwordx2 v[0:1], v[12:13], off
	v_mov_b32_e32 v0, v3
	v_mad_u64_u32 v[0:1], s[0:1], s13, v10, v[0:1]
	s_mov_b32 s0, 0xa0a0a0a1
	v_mul_hi_u32 v10, v58, s0
	v_mov_b32_e32 v3, v0
	s_movk_i32 s0, 0x594
	v_lshlrev_b64 v[0:1], 3, v[2:3]
	v_lshrrev_b32_e32 v2, 7, v10
	v_mad_u32_u24 v13, v2, s0, v58
	v_mad_u64_u32 v[2:3], s[0:1], s12, v13, 0
	v_add_u32_e32 v14, 0xcc, v13
	v_add_co_u32_e32 v0, vcc, v39, v0
	v_mad_u64_u32 v[10:11], s[0:1], s13, v13, v[3:4]
	v_mad_u64_u32 v[11:12], s[0:1], s12, v14, 0
	v_addc_co_u32_e32 v1, vcc, v40, v1, vcc
	v_mov_b32_e32 v3, v10
	global_store_dwordx2 v[0:1], v[8:9], off
	v_lshlrev_b64 v[0:1], 3, v[2:3]
	v_mov_b32_e32 v2, v12
	v_mad_u64_u32 v[2:3], s[0:1], s13, v14, v[2:3]
	v_add_u32_e32 v8, 0x198, v13
	v_add_co_u32_e32 v0, vcc, v39, v0
	v_mov_b32_e32 v12, v2
	v_mad_u64_u32 v[2:3], s[0:1], s12, v8, 0
	v_addc_co_u32_e32 v1, vcc, v40, v1, vcc
	global_store_dwordx2 v[0:1], v[31:32], off
	v_lshlrev_b64 v[0:1], 3, v[11:12]
	v_mad_u64_u32 v[8:9], s[0:1], s13, v8, v[3:4]
	v_add_u32_e32 v11, 0x264, v13
	v_mad_u64_u32 v[9:10], s[0:1], s12, v11, 0
	v_add_co_u32_e32 v0, vcc, v39, v0
	v_addc_co_u32_e32 v1, vcc, v40, v1, vcc
	v_mov_b32_e32 v3, v8
	global_store_dwordx2 v[0:1], v[27:28], off
	v_lshlrev_b64 v[0:1], 3, v[2:3]
	v_mov_b32_e32 v2, v10
	v_mad_u64_u32 v[2:3], s[0:1], s13, v11, v[2:3]
	v_add_u32_e32 v8, 0x330, v13
	v_add_co_u32_e32 v0, vcc, v39, v0
	v_mov_b32_e32 v10, v2
	v_mad_u64_u32 v[2:3], s[0:1], s12, v8, 0
	v_addc_co_u32_e32 v1, vcc, v40, v1, vcc
	global_store_dwordx2 v[0:1], v[21:22], off
	v_lshlrev_b64 v[0:1], 3, v[9:10]
	v_mad_u64_u32 v[8:9], s[0:1], s13, v8, v[3:4]
	v_add_u32_e32 v11, 0x3fc, v13
	v_mad_u64_u32 v[9:10], s[0:1], s12, v11, 0
	v_add_co_u32_e32 v0, vcc, v39, v0
	;; [unrolled: 17-line block ×3, first 2 shown]
	v_addc_co_u32_e32 v1, vcc, v40, v1, vcc
	v_mov_b32_e32 v3, v8
	global_store_dwordx2 v[0:1], v[25:26], off
	v_lshlrev_b64 v[0:1], 3, v[2:3]
	v_mov_b32_e32 v2, v10
	v_mad_u64_u32 v[2:3], s[0:1], s13, v11, v[2:3]
	v_add_co_u32_e32 v0, vcc, v39, v0
	v_addc_co_u32_e32 v1, vcc, v40, v1, vcc
	v_mov_b32_e32 v10, v2
	global_store_dwordx2 v[0:1], v[6:7], off
	v_lshlrev_b64 v[0:1], 3, v[9:10]
	v_add_co_u32_e32 v0, vcc, v39, v0
	v_addc_co_u32_e32 v1, vcc, v40, v1, vcc
	global_store_dwordx2 v[0:1], v[4:5], off
.LBB0_25:
	s_endpgm
	.section	.rodata,"a",@progbits
	.p2align	6, 0x0
	.amdhsa_kernel fft_rtc_back_len1632_factors_17_2_2_3_8_wgs_102_tpt_102_halfLds_sp_ip_CI_sbrr_dirReg
		.amdhsa_group_segment_fixed_size 0
		.amdhsa_private_segment_fixed_size 0
		.amdhsa_kernarg_size 88
		.amdhsa_user_sgpr_count 6
		.amdhsa_user_sgpr_private_segment_buffer 1
		.amdhsa_user_sgpr_dispatch_ptr 0
		.amdhsa_user_sgpr_queue_ptr 0
		.amdhsa_user_sgpr_kernarg_segment_ptr 1
		.amdhsa_user_sgpr_dispatch_id 0
		.amdhsa_user_sgpr_flat_scratch_init 0
		.amdhsa_user_sgpr_private_segment_size 0
		.amdhsa_uses_dynamic_stack 0
		.amdhsa_system_sgpr_private_segment_wavefront_offset 0
		.amdhsa_system_sgpr_workgroup_id_x 1
		.amdhsa_system_sgpr_workgroup_id_y 0
		.amdhsa_system_sgpr_workgroup_id_z 0
		.amdhsa_system_sgpr_workgroup_info 0
		.amdhsa_system_vgpr_workitem_id 0
		.amdhsa_next_free_vgpr 98
		.amdhsa_next_free_sgpr 24
		.amdhsa_reserve_vcc 1
		.amdhsa_reserve_flat_scratch 0
		.amdhsa_float_round_mode_32 0
		.amdhsa_float_round_mode_16_64 0
		.amdhsa_float_denorm_mode_32 3
		.amdhsa_float_denorm_mode_16_64 3
		.amdhsa_dx10_clamp 1
		.amdhsa_ieee_mode 1
		.amdhsa_fp16_overflow 0
		.amdhsa_exception_fp_ieee_invalid_op 0
		.amdhsa_exception_fp_denorm_src 0
		.amdhsa_exception_fp_ieee_div_zero 0
		.amdhsa_exception_fp_ieee_overflow 0
		.amdhsa_exception_fp_ieee_underflow 0
		.amdhsa_exception_fp_ieee_inexact 0
		.amdhsa_exception_int_div_zero 0
	.end_amdhsa_kernel
	.text
.Lfunc_end0:
	.size	fft_rtc_back_len1632_factors_17_2_2_3_8_wgs_102_tpt_102_halfLds_sp_ip_CI_sbrr_dirReg, .Lfunc_end0-fft_rtc_back_len1632_factors_17_2_2_3_8_wgs_102_tpt_102_halfLds_sp_ip_CI_sbrr_dirReg
                                        ; -- End function
	.section	.AMDGPU.csdata,"",@progbits
; Kernel info:
; codeLenInByte = 13328
; NumSgprs: 28
; NumVgprs: 98
; ScratchSize: 0
; MemoryBound: 0
; FloatMode: 240
; IeeeMode: 1
; LDSByteSize: 0 bytes/workgroup (compile time only)
; SGPRBlocks: 3
; VGPRBlocks: 24
; NumSGPRsForWavesPerEU: 28
; NumVGPRsForWavesPerEU: 98
; Occupancy: 2
; WaveLimiterHint : 1
; COMPUTE_PGM_RSRC2:SCRATCH_EN: 0
; COMPUTE_PGM_RSRC2:USER_SGPR: 6
; COMPUTE_PGM_RSRC2:TRAP_HANDLER: 0
; COMPUTE_PGM_RSRC2:TGID_X_EN: 1
; COMPUTE_PGM_RSRC2:TGID_Y_EN: 0
; COMPUTE_PGM_RSRC2:TGID_Z_EN: 0
; COMPUTE_PGM_RSRC2:TIDIG_COMP_CNT: 0
	.type	__hip_cuid_b2582818a5b508b,@object ; @__hip_cuid_b2582818a5b508b
	.section	.bss,"aw",@nobits
	.globl	__hip_cuid_b2582818a5b508b
__hip_cuid_b2582818a5b508b:
	.byte	0                               ; 0x0
	.size	__hip_cuid_b2582818a5b508b, 1

	.ident	"AMD clang version 19.0.0git (https://github.com/RadeonOpenCompute/llvm-project roc-6.4.0 25133 c7fe45cf4b819c5991fe208aaa96edf142730f1d)"
	.section	".note.GNU-stack","",@progbits
	.addrsig
	.addrsig_sym __hip_cuid_b2582818a5b508b
	.amdgpu_metadata
---
amdhsa.kernels:
  - .args:
      - .actual_access:  read_only
        .address_space:  global
        .offset:         0
        .size:           8
        .value_kind:     global_buffer
      - .offset:         8
        .size:           8
        .value_kind:     by_value
      - .actual_access:  read_only
        .address_space:  global
        .offset:         16
        .size:           8
        .value_kind:     global_buffer
      - .actual_access:  read_only
        .address_space:  global
        .offset:         24
        .size:           8
        .value_kind:     global_buffer
      - .offset:         32
        .size:           8
        .value_kind:     by_value
      - .actual_access:  read_only
        .address_space:  global
        .offset:         40
        .size:           8
        .value_kind:     global_buffer
      - .actual_access:  read_only
        .address_space:  global
        .offset:         48
        .size:           8
        .value_kind:     global_buffer
      - .offset:         56
        .size:           4
        .value_kind:     by_value
      - .actual_access:  read_only
        .address_space:  global
        .offset:         64
        .size:           8
        .value_kind:     global_buffer
      - .actual_access:  read_only
        .address_space:  global
        .offset:         72
        .size:           8
        .value_kind:     global_buffer
      - .address_space:  global
        .offset:         80
        .size:           8
        .value_kind:     global_buffer
    .group_segment_fixed_size: 0
    .kernarg_segment_align: 8
    .kernarg_segment_size: 88
    .language:       OpenCL C
    .language_version:
      - 2
      - 0
    .max_flat_workgroup_size: 102
    .name:           fft_rtc_back_len1632_factors_17_2_2_3_8_wgs_102_tpt_102_halfLds_sp_ip_CI_sbrr_dirReg
    .private_segment_fixed_size: 0
    .sgpr_count:     28
    .sgpr_spill_count: 0
    .symbol:         fft_rtc_back_len1632_factors_17_2_2_3_8_wgs_102_tpt_102_halfLds_sp_ip_CI_sbrr_dirReg.kd
    .uniform_work_group_size: 1
    .uses_dynamic_stack: false
    .vgpr_count:     98
    .vgpr_spill_count: 0
    .wavefront_size: 64
amdhsa.target:   amdgcn-amd-amdhsa--gfx906
amdhsa.version:
  - 1
  - 2
...

	.end_amdgpu_metadata
